;; amdgpu-corpus repo=ROCm/rocFFT kind=compiled arch=gfx1201 opt=O3
	.text
	.amdgcn_target "amdgcn-amd-amdhsa--gfx1201"
	.amdhsa_code_object_version 6
	.protected	bluestein_single_back_len850_dim1_sp_op_CI_CI ; -- Begin function bluestein_single_back_len850_dim1_sp_op_CI_CI
	.globl	bluestein_single_back_len850_dim1_sp_op_CI_CI
	.p2align	8
	.type	bluestein_single_back_len850_dim1_sp_op_CI_CI,@function
bluestein_single_back_len850_dim1_sp_op_CI_CI: ; @bluestein_single_back_len850_dim1_sp_op_CI_CI
; %bb.0:
	s_load_b128 s[12:15], s[0:1], 0x28
	v_mul_u32_u24_e32 v1, 0x304, v0
	s_mov_b32 s2, exec_lo
	v_mov_b32_e32 v5, 0
	s_delay_alu instid0(VALU_DEP_2) | instskip(NEXT) | instid1(VALU_DEP_1)
	v_lshrrev_b32_e32 v1, 16, v1
	v_add_nc_u32_e32 v4, ttmp9, v1
	s_wait_kmcnt 0x0
	s_delay_alu instid0(VALU_DEP_1)
	v_cmpx_gt_u64_e64 s[12:13], v[4:5]
	s_cbranch_execz .LBB0_10
; %bb.1:
	s_clause 0x1
	s_load_b128 s[4:7], s[0:1], 0x18
	s_load_b128 s[8:11], s[0:1], 0x0
	v_mul_lo_u16 v1, 0x55, v1
	s_delay_alu instid0(VALU_DEP_1) | instskip(NEXT) | instid1(VALU_DEP_1)
	v_sub_nc_u16 v16, v0, v1
	v_and_b32_e32 v103, 0xffff, v16
	v_mov_b32_e32 v5, v4
	v_add_nc_u16 v29, v16, 0x55
	s_delay_alu instid0(VALU_DEP_3)
	v_lshlrev_b32_e32 v94, 3, v103
	scratch_store_b64 off, v[5:6], off offset:4 ; 8-byte Folded Spill
	v_and_b32_e32 v22, 0xff, v29
	s_wait_kmcnt 0x0
	s_load_b128 s[16:19], s[4:5], 0x0
	s_clause 0x7
	global_load_b64 v[77:78], v94, s[8:9]
	global_load_b64 v[79:80], v94, s[8:9] offset:680
	global_load_b64 v[83:84], v94, s[8:9] offset:1360
	;; [unrolled: 1-line block ×7, first 2 shown]
	v_mul_lo_u16 v26, 0xcd, v22
	v_add_nc_u32_e32 v24, 0x800, v94
	s_delay_alu instid0(VALU_DEP_2) | instskip(SKIP_4) | instid1(VALU_DEP_1)
	v_lshrrev_b16 v33, 11, v26
	s_wait_kmcnt 0x0
	v_mad_co_u64_u32 v[0:1], null, s18, v4, 0
	v_mad_co_u64_u32 v[2:3], null, s16, v103, 0
	s_mul_u64 s[2:3], s[16:17], 0x2a8
	v_mad_co_u64_u32 v[4:5], null, s19, v4, v[1:2]
	s_delay_alu instid0(VALU_DEP_1) | instskip(SKIP_1) | instid1(VALU_DEP_1)
	v_mad_co_u64_u32 v[5:6], null, s17, v103, v[3:4]
	v_mov_b32_e32 v1, v4
	v_lshlrev_b64_e32 v[0:1], 3, v[0:1]
	s_delay_alu instid0(VALU_DEP_3) | instskip(NEXT) | instid1(VALU_DEP_2)
	v_mov_b32_e32 v3, v5
	v_add_co_u32 v0, vcc_lo, s14, v0
	s_delay_alu instid0(VALU_DEP_2) | instskip(NEXT) | instid1(VALU_DEP_4)
	v_lshlrev_b64_e32 v[2:3], 3, v[2:3]
	v_add_co_ci_u32_e32 v1, vcc_lo, s15, v1, vcc_lo
	s_delay_alu instid0(VALU_DEP_2) | instskip(SKIP_1) | instid1(VALU_DEP_2)
	v_add_co_u32 v0, vcc_lo, v0, v2
	s_wait_alu 0xfffd
	v_add_co_ci_u32_e32 v1, vcc_lo, v1, v3, vcc_lo
	s_delay_alu instid0(VALU_DEP_2) | instskip(SKIP_1) | instid1(VALU_DEP_2)
	v_add_co_u32 v2, vcc_lo, v0, s2
	s_wait_alu 0xfffd
	v_add_co_ci_u32_e32 v3, vcc_lo, s3, v1, vcc_lo
	global_load_b64 v[0:1], v[0:1], off
	v_add_co_u32 v4, vcc_lo, v2, s2
	s_wait_alu 0xfffd
	v_add_co_ci_u32_e32 v5, vcc_lo, s3, v3, vcc_lo
	s_delay_alu instid0(VALU_DEP_2) | instskip(SKIP_1) | instid1(VALU_DEP_2)
	v_add_co_u32 v6, vcc_lo, v4, s2
	s_wait_alu 0xfffd
	v_add_co_ci_u32_e32 v7, vcc_lo, s3, v5, vcc_lo
	s_delay_alu instid0(VALU_DEP_2) | instskip(SKIP_1) | instid1(VALU_DEP_2)
	v_add_co_u32 v8, vcc_lo, v6, s2
	s_wait_alu 0xfffd
	v_add_co_ci_u32_e32 v9, vcc_lo, s3, v7, vcc_lo
	s_clause 0x2
	global_load_b64 v[2:3], v[2:3], off
	global_load_b64 v[4:5], v[4:5], off
	;; [unrolled: 1-line block ×3, first 2 shown]
	v_add_co_u32 v10, vcc_lo, v8, s2
	s_wait_alu 0xfffd
	v_add_co_ci_u32_e32 v11, vcc_lo, s3, v9, vcc_lo
	global_load_b64 v[8:9], v[8:9], off
	v_add_co_u32 v12, vcc_lo, v10, s2
	s_wait_alu 0xfffd
	v_add_co_ci_u32_e32 v13, vcc_lo, s3, v11, vcc_lo
	global_load_b64 v[10:11], v[10:11], off
	;; [unrolled: 4-line block ×5, first 2 shown]
	s_clause 0x1
	global_load_b64 v[85:86], v94, s[8:9] offset:5440
	global_load_b64 v[87:88], v94, s[8:9] offset:6120
	global_load_b64 v[19:20], v[19:20], off
	v_add_nc_u32_e32 v22, 0x1000, v94
	v_add_nc_u32_e32 v23, 0xc00, v94
	s_load_b128 s[4:7], s[6:7], 0x0
	v_cmp_gt_u16_e32 vcc_lo, 50, v16
	s_load_b64 s[2:3], s[0:1], 0x38
	v_add_co_u32 v91, s0, s8, v94
	s_wait_alu 0xf1ff
	v_add_co_ci_u32_e64 v92, null, s9, 0, s0
	s_wait_loadcnt 0xb
	v_mul_f32_e32 v26, v0, v78
	s_delay_alu instid0(VALU_DEP_1) | instskip(SKIP_3) | instid1(VALU_DEP_2)
	v_fma_f32 v26, v1, v77, -v26
	s_wait_loadcnt 0xa
	v_mul_f32_e32 v28, v2, v80
	v_mul_f32_e32 v27, v3, v80
	v_fma_f32 v28, v3, v79, -v28
	s_wait_loadcnt 0x8
	s_delay_alu instid0(VALU_DEP_2) | instskip(SKIP_1) | instid1(VALU_DEP_2)
	v_dual_fmac_f32 v27, v2, v79 :: v_dual_mul_f32 v2, v7, v70
	v_mul_f32_e32 v25, v1, v78
	v_dual_mul_f32 v1, v4, v84 :: v_dual_fmac_f32 v2, v6, v69
	s_delay_alu instid0(VALU_DEP_2) | instskip(NEXT) | instid1(VALU_DEP_1)
	v_dual_fmac_f32 v25, v0, v77 :: v_dual_mul_f32 v0, v5, v84
	v_dual_fmac_f32 v0, v4, v83 :: v_dual_and_b32 v21, 0xff, v16
	s_wait_loadcnt 0x7
	v_mul_f32_e32 v4, v9, v74
	v_mul_f32_e32 v3, v6, v70
	v_fma_f32 v1, v5, v83, -v1
	s_wait_loadcnt 0x6
	v_dual_mul_f32 v5, v8, v74 :: v_dual_mul_f32 v6, v11, v76
	v_fmac_f32_e32 v4, v8, v73
	v_fma_f32 v3, v7, v69, -v3
	s_wait_loadcnt 0x5
	v_dual_mul_f32 v7, v10, v76 :: v_dual_mul_f32 v8, v13, v82
	v_fma_f32 v5, v9, v73, -v5
	v_dual_mul_f32 v9, v12, v82 :: v_dual_fmac_f32 v6, v10, v75
	s_wait_loadcnt 0x4
	v_mul_f32_e32 v10, v15, v72
	v_fma_f32 v7, v11, v75, -v7
	v_dual_fmac_f32 v8, v12, v81 :: v_dual_mul_f32 v11, v14, v72
	v_fma_f32 v9, v13, v81, -v9
	s_wait_loadcnt 0x2
	v_mul_f32_e32 v12, v18, v86
	v_dual_mul_f32 v13, v17, v86 :: v_dual_fmac_f32 v10, v14, v71
	s_wait_loadcnt 0x0
	v_mul_f32_e32 v31, v19, v88
	v_mul_f32_e32 v14, v20, v88
	v_mul_lo_u16 v21, 0xcd, v21
	v_fma_f32 v11, v15, v71, -v11
	v_fmac_f32_e32 v12, v17, v85
	v_fma_f32 v13, v18, v85, -v13
	v_fmac_f32_e32 v14, v19, v87
	v_fma_f32 v15, v20, v87, -v31
	v_lshrrev_b16 v21, 11, v21
	ds_store_2addr_b64 v94, v[25:26], v[27:28] offset1:85
	ds_store_2addr_b64 v94, v[0:1], v[2:3] offset0:170 offset1:255
	ds_store_2addr_b64 v24, v[4:5], v[6:7] offset0:84 offset1:169
	;; [unrolled: 1-line block ×4, first 2 shown]
	global_wb scope:SCOPE_SE
	s_wait_storecnt_dscnt 0x0
	s_wait_kmcnt 0x0
	s_barrier_signal -1
	s_barrier_wait -1
	global_inv scope:SCOPE_SE
	ds_load_2addr_b64 v[0:3], v94 offset1:85
	ds_load_2addr_b64 v[4:7], v94 offset0:170 offset1:255
	ds_load_2addr_b64 v[8:11], v24 offset0:84 offset1:169
	;; [unrolled: 1-line block ×4, first 2 shown]
	v_mul_lo_u16 v30, v21, 10
	v_mul_lo_u16 v25, v16, 10
	v_mul_lo_u16 v27, v33, 10
	global_wb scope:SCOPE_SE
	s_wait_dscnt 0x0
	s_barrier_signal -1
	v_sub_nc_u16 v26, v16, v30
	v_and_b32_e32 v25, 0xffff, v25
	s_barrier_wait -1
	global_inv scope:SCOPE_SE
	v_and_b32_e32 v41, 0xff, v26
	v_lshlrev_b32_e32 v95, 3, v25
	v_sub_nc_u16 v26, v29, v27
	s_delay_alu instid0(VALU_DEP_3) | instskip(SKIP_1) | instid1(VALU_DEP_3)
	v_lshlrev_b32_e32 v25, 5, v41
	v_add_f32_e32 v36, v1, v5
	v_dual_add_f32 v27, v8, v12 :: v_dual_and_b32 v42, 0xff, v26
	v_add_f32_e32 v26, v0, v4
	v_dual_sub_f32 v28, v5, v18 :: v_dual_sub_f32 v35, v12, v17
	v_dual_sub_f32 v29, v9, v13 :: v_dual_sub_f32 v30, v4, v8
	v_dual_sub_f32 v31, v17, v12 :: v_dual_add_f32 v32, v4, v17
	v_dual_sub_f32 v34, v8, v4 :: v_dual_add_f32 v37, v9, v13
	;; [unrolled: 1-line block ×3, first 2 shown]
	v_dual_sub_f32 v38, v8, v12 :: v_dual_sub_f32 v39, v5, v9
	v_dual_sub_f32 v5, v9, v5 :: v_dual_add_f32 v46, v10, v14
	v_dual_sub_f32 v44, v13, v18 :: v_dual_add_f32 v51, v6, v19
	v_add_f32_e32 v45, v2, v6
	v_dual_sub_f32 v40, v18, v13 :: v_dual_add_f32 v55, v11, v15
	v_sub_f32_e32 v47, v7, v20
	v_dual_sub_f32 v48, v11, v15 :: v_dual_sub_f32 v49, v6, v10
	v_dual_sub_f32 v50, v19, v14 :: v_dual_sub_f32 v53, v14, v19
	;; [unrolled: 1-line block ×3, first 2 shown]
	v_dual_add_f32 v54, v3, v7 :: v_dual_add_f32 v9, v36, v9
	v_dual_sub_f32 v6, v6, v19 :: v_dual_add_f32 v59, v7, v20
	v_dual_sub_f32 v56, v10, v14 :: v_dual_sub_f32 v7, v11, v7
	v_sub_f32_e32 v58, v20, v15
	v_sub_f32_e32 v60, v15, v20
	v_add_f32_e32 v8, v26, v8
	v_fma_f32 v26, -0.5, v27, v0
	v_add_f32_e32 v27, v30, v31
	v_fma_f32 v30, -0.5, v32, v0
	v_dual_add_f32 v0, v34, v35 :: v_dual_add_f32 v35, v49, v50
	v_fma_f32 v31, -0.5, v37, v1
	v_fma_f32 v34, -0.5, v43, v1
	v_add_f32_e32 v1, v5, v44
	v_add_f32_e32 v5, v45, v10
	v_fma_f32 v10, -0.5, v46, v2
	v_fma_f32 v2, -0.5, v51, v2
	v_dual_add_f32 v32, v39, v40 :: v_dual_add_f32 v11, v54, v11
	v_fma_f32 v37, -0.5, v55, v3
	v_dual_fmac_f32 v3, -0.5, v59 :: v_dual_add_f32 v8, v8, v12
	s_delay_alu instid0(VALU_DEP_4)
	v_fmamk_f32 v44, v48, 0xbf737871, v2
	v_dual_add_f32 v36, v52, v53 :: v_dual_add_f32 v39, v57, v58
	v_dual_add_f32 v7, v7, v60 :: v_dual_fmamk_f32 v12, v28, 0x3f737871, v26
	v_dual_fmac_f32 v26, 0xbf737871, v28 :: v_dual_add_f32 v9, v9, v13
	v_dual_fmamk_f32 v40, v29, 0xbf737871, v30 :: v_dual_fmamk_f32 v13, v4, 0xbf737871, v31
	v_dual_fmac_f32 v30, 0x3f737871, v29 :: v_dual_fmac_f32 v31, 0x3f737871, v4
	v_dual_fmamk_f32 v43, v38, 0x3f737871, v34 :: v_dual_add_f32 v8, v8, v17
	v_dual_fmac_f32 v34, 0xbf737871, v38 :: v_dual_add_f32 v11, v11, v15
	v_dual_add_f32 v5, v5, v14 :: v_dual_fmamk_f32 v14, v47, 0x3f737871, v10
	v_fmamk_f32 v45, v56, 0x3f737871, v3
	v_fmac_f32_e32 v3, 0xbf737871, v56
	v_fmac_f32_e32 v44, 0x3f167918, v47
	v_dual_fmac_f32 v10, 0xbf737871, v47 :: v_dual_fmamk_f32 v15, v6, 0xbf737871, v37
	v_dual_fmac_f32 v2, 0x3f737871, v48 :: v_dual_fmac_f32 v37, 0x3f737871, v6
	v_dual_fmac_f32 v12, 0x3f167918, v29 :: v_dual_add_f32 v9, v9, v18
	v_dual_fmac_f32 v26, 0xbf167918, v29 :: v_dual_fmac_f32 v13, 0xbf167918, v38
	v_dual_fmac_f32 v40, 0x3f167918, v28 :: v_dual_fmac_f32 v31, 0x3f167918, v38
	s_delay_alu instid0(VALU_DEP_4)
	v_dual_fmac_f32 v43, 0xbf167918, v4 :: v_dual_fmac_f32 v2, 0xbf167918, v47
	v_dual_fmac_f32 v34, 0x3f167918, v4 :: v_dual_fmac_f32 v3, 0x3f167918, v6
	v_add_f32_e32 v4, v5, v19
	v_dual_fmac_f32 v30, 0xbf167918, v28 :: v_dual_fmac_f32 v45, 0xbf167918, v6
	v_add_f32_e32 v5, v11, v20
	v_fmac_f32_e32 v44, 0x3e9e377a, v36
	v_fmac_f32_e32 v14, 0x3f167918, v48
	v_dual_fmac_f32 v12, 0x3e9e377a, v27 :: v_dual_fmac_f32 v13, 0x3e9e377a, v32
	v_dual_fmac_f32 v26, 0x3e9e377a, v27 :: v_dual_fmac_f32 v31, 0x3e9e377a, v32
	;; [unrolled: 1-line block ×3, first 2 shown]
	v_fmac_f32_e32 v45, 0x3e9e377a, v7
	v_mul_f32_e32 v27, 0xbf737871, v44
	v_fmac_f32_e32 v34, 0x3e9e377a, v1
	v_dual_add_f32 v1, v9, v5 :: v_dual_fmac_f32 v14, 0x3e9e377a, v35
	v_fmac_f32_e32 v10, 0xbf167918, v48
	s_delay_alu instid0(VALU_DEP_4) | instskip(SKIP_4) | instid1(VALU_DEP_4)
	v_fmac_f32_e32 v27, 0x3e9e377a, v45
	v_fmac_f32_e32 v15, 0xbf167918, v56
	v_dual_fmac_f32 v2, 0x3e9e377a, v36 :: v_dual_fmac_f32 v3, 0x3e9e377a, v7
	v_mul_f32_e32 v17, 0x3f4f1bbd, v14
	v_mul_f32_e32 v20, 0xbf167918, v14
	v_dual_fmac_f32 v30, 0x3e9e377a, v0 :: v_dual_fmac_f32 v15, 0x3e9e377a, v39
	v_dual_add_f32 v0, v8, v4 :: v_dual_sub_f32 v7, v9, v5
	v_mul_f32_e32 v18, 0x3f737871, v45
	s_delay_alu instid0(VALU_DEP_3)
	v_fmac_f32_e32 v17, 0x3f167918, v15
	v_fmac_f32_e32 v37, 0x3f167918, v56
	;; [unrolled: 1-line block ×4, first 2 shown]
	v_sub_f32_e32 v6, v8, v4
	v_mul_f32_e32 v8, 0x3e9e377a, v3
	v_sub_f32_e32 v15, v43, v27
	s_delay_alu instid0(VALU_DEP_2) | instskip(SKIP_2) | instid1(VALU_DEP_3)
	v_fma_f32 v29, 0xbf737871, v2, -v8
	v_mul_f32_e32 v4, 0x3e9e377a, v2
	v_dual_add_f32 v2, v12, v17 :: v_dual_fmac_f32 v37, 0x3e9e377a, v39
	v_add_f32_e32 v11, v34, v29
	s_delay_alu instid0(VALU_DEP_3) | instskip(SKIP_3) | instid1(VALU_DEP_2)
	v_fma_f32 v19, 0x3f737871, v3, -v4
	v_add_f32_e32 v3, v13, v20
	v_mul_f32_e32 v5, 0x3f4f1bbd, v10
	v_mul_f32_e32 v9, 0x3f4f1bbd, v37
	v_fma_f32 v28, 0x3f167918, v37, -v5
	s_delay_alu instid0(VALU_DEP_2) | instskip(SKIP_2) | instid1(VALU_DEP_4)
	v_fma_f32 v32, 0xbf167918, v10, -v9
	v_add_f32_e32 v10, v30, v19
	v_dual_add_f32 v9, v43, v27 :: v_dual_fmac_f32 v18, 0x3e9e377a, v44
	v_add_f32_e32 v4, v26, v28
	v_dual_sub_f32 v12, v12, v17 :: v_dual_sub_f32 v17, v30, v19
	s_delay_alu instid0(VALU_DEP_3)
	v_dual_add_f32 v5, v31, v32 :: v_dual_add_f32 v8, v40, v18
	v_dual_sub_f32 v14, v40, v18 :: v_dual_sub_f32 v19, v26, v28
	v_dual_sub_f32 v13, v13, v20 :: v_dual_sub_f32 v18, v34, v29
	v_sub_f32_e32 v20, v31, v32
	ds_store_b128 v95, v[0:3]
	ds_store_b128 v95, v[8:11] offset:16
	ds_store_b128 v95, v[4:7] offset:32
	;; [unrolled: 1-line block ×4, first 2 shown]
	v_and_b32_e32 v17, 0xffff, v21
	global_wb scope:SCOPE_SE
	s_wait_dscnt 0x0
	s_barrier_signal -1
	s_barrier_wait -1
	global_inv scope:SCOPE_SE
	global_load_b128 v[12:15], v25, s[10:11]
	v_lshlrev_b32_e32 v0, 5, v42
	s_clause 0x2
	global_load_b128 v[8:11], v25, s[10:11] offset:16
	global_load_b128 v[4:7], v0, s[10:11]
	global_load_b128 v[0:3], v0, s[10:11] offset:16
	ds_load_2addr_b64 v[29:32], v24 offset0:84 offset1:169
	ds_load_2addr_b64 v[25:28], v94 offset0:170 offset1:255
	v_and_b32_e32 v18, 0xffff, v33
	ds_load_2addr_b64 v[33:36], v23 offset0:126 offset1:211
	ds_load_2addr_b64 v[37:40], v22 offset0:168 offset1:253
	v_mul_u32_u24_e32 v16, 50, v17
	s_delay_alu instid0(VALU_DEP_1)
	v_add_lshl_u32 v97, v16, v41, 3
	s_wait_loadcnt_dscnt 0x303
	v_mul_f32_e32 v41, v30, v15
	v_mul_u32_u24_e32 v17, 50, v18
	ds_load_2addr_b64 v[18:21], v94 offset1:85
	s_wait_dscnt 0x3
	v_mul_f32_e32 v16, v26, v13
	s_wait_loadcnt 0x1
	v_dual_mul_f32 v44, v29, v15 :: v_dual_mul_f32 v47, v27, v5
	v_add_lshl_u32 v96, v17, v42, 3
	v_mul_f32_e32 v17, v25, v13
	s_wait_dscnt 0x2
	v_mul_f32_e32 v42, v34, v9
	v_dual_mul_f32 v45, v33, v9 :: v_dual_mul_f32 v48, v32, v7
	s_wait_dscnt 0x1
	v_dual_mul_f32 v43, v38, v11 :: v_dual_mul_f32 v46, v28, v5
	s_wait_loadcnt 0x0
	v_dual_mul_f32 v50, v37, v11 :: v_dual_mul_f32 v51, v36, v1
	v_mul_f32_e32 v49, v31, v7
	v_dual_mul_f32 v52, v35, v1 :: v_dual_fmac_f32 v17, v26, v12
	v_mul_f32_e32 v53, v40, v3
	v_dual_mul_f32 v54, v39, v3 :: v_dual_fmac_f32 v45, v34, v8
	v_fma_f32 v16, v25, v12, -v16
	v_fma_f32 v25, v29, v14, -v41
	v_fmac_f32_e32 v44, v30, v14
	v_fma_f32 v29, v37, v10, -v43
	v_fmac_f32_e32 v50, v38, v10
	;; [unrolled: 2-line block ×3, first 2 shown]
	v_fma_f32 v26, v33, v8, -v42
	v_fma_f32 v28, v31, v6, -v48
	v_fmac_f32_e32 v49, v32, v6
	v_fma_f32 v30, v35, v0, -v51
	s_delay_alu instid0(VALU_DEP_4)
	v_dual_fmac_f32 v52, v36, v0 :: v_dual_sub_f32 v37, v26, v29
	v_fma_f32 v31, v39, v2, -v53
	v_sub_f32_e32 v33, v16, v25
	v_dual_fmac_f32 v54, v40, v2 :: v_dual_sub_f32 v39, v17, v44
	s_wait_dscnt 0x0
	v_dual_add_f32 v32, v25, v26 :: v_dual_add_f32 v51, v20, v27
	v_dual_sub_f32 v34, v29, v26 :: v_dual_sub_f32 v55, v27, v28
	v_dual_add_f32 v35, v16, v29 :: v_dual_sub_f32 v36, v25, v16
	v_dual_add_f32 v38, v44, v45 :: v_dual_add_f32 v41, v17, v50
	v_dual_sub_f32 v40, v50, v45 :: v_dual_add_f32 v53, v28, v30
	v_dual_sub_f32 v46, v44, v17 :: v_dual_add_f32 v57, v27, v31
	;; [unrolled: 1-line block ×3, first 2 shown]
	v_dual_sub_f32 v58, v28, v27 :: v_dual_sub_f32 v61, v47, v49
	v_dual_add_f32 v60, v49, v52 :: v_dual_add_f32 v63, v47, v54
	v_dual_sub_f32 v62, v54, v52 :: v_dual_sub_f32 v65, v52, v54
	v_dual_sub_f32 v64, v49, v47 :: v_dual_add_f32 v67, v19, v17
	v_dual_add_f32 v66, v21, v47 :: v_dual_sub_f32 v93, v44, v45
	v_dual_sub_f32 v48, v45, v50 :: v_dual_sub_f32 v59, v30, v31
	v_dual_sub_f32 v90, v17, v50 :: v_dual_sub_f32 v27, v27, v31
	;; [unrolled: 1-line block ×4, first 2 shown]
	v_sub_f32_e32 v102, v28, v30
	v_add_f32_e32 v33, v33, v34
	v_fma_f32 v42, -0.5, v32, v18
	v_add_f32_e32 v32, v36, v37
	v_fma_f32 v43, -0.5, v38, v19
	v_dual_add_f32 v34, v39, v40 :: v_dual_add_f32 v37, v58, v59
	v_fma_f32 v18, -0.5, v35, v18
	v_fma_f32 v19, -0.5, v41, v19
	v_add_f32_e32 v36, v55, v56
	v_fma_f32 v40, -0.5, v53, v20
	v_fma_f32 v20, -0.5, v57, v20
	;; [unrolled: 1-line block ×3, first 2 shown]
	v_dual_fmac_f32 v21, -0.5, v63 :: v_dual_add_f32 v38, v61, v62
	v_dual_add_f32 v17, v67, v44 :: v_dual_add_f32 v16, v89, v25
	v_dual_add_f32 v25, v51, v28 :: v_dual_add_f32 v28, v66, v49
	v_add_f32_e32 v35, v46, v48
	v_dual_add_f32 v39, v64, v65 :: v_dual_fmamk_f32 v62, v90, 0x3f737871, v42
	s_delay_alu instid0(VALU_DEP_4)
	v_dual_add_f32 v26, v16, v26 :: v_dual_fmamk_f32 v63, v98, 0xbf737871, v43
	v_dual_add_f32 v44, v17, v45 :: v_dual_fmac_f32 v43, 0x3f737871, v98
	v_dual_add_f32 v25, v25, v30 :: v_dual_add_f32 v28, v28, v52
	v_fmamk_f32 v17, v99, 0x3f737871, v19
	v_dual_fmac_f32 v42, 0xbf737871, v90 :: v_dual_fmac_f32 v19, 0xbf737871, v99
	v_dual_fmamk_f32 v16, v93, 0xbf737871, v18 :: v_dual_fmamk_f32 v47, v27, 0xbf737871, v41
	v_dual_fmac_f32 v18, 0x3f737871, v93 :: v_dual_fmac_f32 v41, 0x3f737871, v27
	v_dual_fmamk_f32 v46, v100, 0x3f737871, v40 :: v_dual_fmamk_f32 v49, v102, 0x3f737871, v21
	v_dual_fmac_f32 v40, 0xbf737871, v100 :: v_dual_fmac_f32 v21, 0xbf737871, v102
	v_dual_fmamk_f32 v48, v101, 0xbf737871, v20 :: v_dual_add_f32 v61, v44, v50
	v_dual_fmac_f32 v20, 0x3f737871, v101 :: v_dual_add_f32 v45, v28, v54
	v_dual_add_f32 v60, v26, v29 :: v_dual_fmac_f32 v63, 0xbf167918, v99
	v_dual_fmac_f32 v62, 0x3f167918, v93 :: v_dual_fmac_f32 v43, 0x3f167918, v99
	v_dual_fmac_f32 v42, 0xbf167918, v93 :: v_dual_fmac_f32 v17, 0xbf167918, v98
	;; [unrolled: 1-line block ×4, first 2 shown]
	v_dual_fmac_f32 v19, 0x3f167918, v98 :: v_dual_add_f32 v44, v25, v31
	v_dual_fmac_f32 v46, 0x3f167918, v101 :: v_dual_fmac_f32 v41, 0x3f167918, v102
	v_dual_fmac_f32 v40, 0xbf167918, v101 :: v_dual_fmac_f32 v47, 0xbf167918, v102
	v_fmac_f32_e32 v48, 0x3f167918, v100
	v_fmac_f32_e32 v20, 0xbf167918, v100
	v_dual_fmac_f32 v62, 0x3e9e377a, v33 :: v_dual_fmac_f32 v63, 0x3e9e377a, v34
	v_dual_fmac_f32 v42, 0x3e9e377a, v33 :: v_dual_fmac_f32 v43, 0x3e9e377a, v34
	v_dual_fmac_f32 v16, 0x3e9e377a, v32 :: v_dual_fmac_f32 v17, 0x3e9e377a, v35
	v_dual_fmac_f32 v18, 0x3e9e377a, v32 :: v_dual_fmac_f32 v19, 0x3e9e377a, v35
	v_dual_fmac_f32 v46, 0x3e9e377a, v36 :: v_dual_fmac_f32 v47, 0x3e9e377a, v38
	v_dual_fmac_f32 v40, 0x3e9e377a, v36 :: v_dual_fmac_f32 v41, 0x3e9e377a, v38
	v_dual_fmac_f32 v48, 0x3e9e377a, v37 :: v_dual_fmac_f32 v49, 0x3e9e377a, v39
	v_dual_fmac_f32 v20, 0x3e9e377a, v37 :: v_dual_fmac_f32 v21, 0x3e9e377a, v39
	global_wb scope:SCOPE_SE
	s_barrier_signal -1
	s_barrier_wait -1
	global_inv scope:SCOPE_SE
	ds_store_2addr_b64 v97, v[60:61], v[62:63] offset1:10
	ds_store_2addr_b64 v97, v[16:17], v[18:19] offset0:20 offset1:30
	ds_store_b64 v97, v[42:43] offset:320
	ds_store_2addr_b64 v96, v[44:45], v[46:47] offset1:10
	ds_store_2addr_b64 v96, v[48:49], v[20:21] offset0:20 offset1:30
	ds_store_b64 v96, v[40:41] offset:320
	global_wb scope:SCOPE_SE
	s_wait_dscnt 0x0
	s_barrier_signal -1
	s_barrier_wait -1
	global_inv scope:SCOPE_SE
                                        ; implicit-def: $vgpr64
                                        ; implicit-def: $vgpr50
                                        ; implicit-def: $vgpr54
                                        ; implicit-def: $vgpr58
	s_and_saveexec_b32 s0, vcc_lo
	s_cbranch_execz .LBB0_3
; %bb.2:
	ds_load_2addr_b64 v[60:63], v94 offset1:50
	ds_load_2addr_b64 v[16:19], v94 offset0:100 offset1:150
	ds_load_2addr_b64 v[38:41], v24 offset0:144 offset1:194
	;; [unrolled: 1-line block ×7, first 2 shown]
	ds_load_b64 v[58:59], v94 offset:6400
	s_wait_dscnt 0x6
	v_dual_mov_b32 v20, v38 :: v_dual_mov_b32 v21, v39
.LBB0_3:
	s_wait_alu 0xfffe
	s_or_b32 exec_lo, exec_lo, s0
	v_lshlrev_b32_e32 v22, 4, v103
	scratch_store_b32 off, v103, off        ; 4-byte Folded Spill
	v_add_co_u32 v23, s0, 0xfffffce0, v22
	s_wait_alu 0xf1ff
	v_add_co_ci_u32_e64 v24, null, 0, -1, s0
	s_delay_alu instid0(VALU_DEP_2) | instskip(NEXT) | instid1(VALU_DEP_2)
	v_cndmask_b32_e32 v22, v23, v22, vcc_lo
	v_cndmask_b32_e64 v23, v24, 0, vcc_lo
	s_delay_alu instid0(VALU_DEP_1) | instskip(NEXT) | instid1(VALU_DEP_1)
	v_lshlrev_b64_e32 v[22:23], 3, v[22:23]
	v_add_co_u32 v89, s0, s10, v22
	s_wait_alu 0xf1ff
	s_delay_alu instid0(VALU_DEP_2)
	v_add_co_ci_u32_e64 v90, s0, s11, v23, s0
	s_clause 0x1
	global_load_b128 v[24:27], v[89:90], off offset:320
	global_load_b128 v[32:35], v[89:90], off offset:336
	s_wait_loadcnt 0x1
	v_mul_f32_e32 v99, v16, v27
	s_wait_loadcnt 0x0
	v_dual_mul_f32 v22, v17, v27 :: v_dual_mul_f32 v101, v18, v33
	s_wait_dscnt 0x5
	v_mul_f32_e32 v103, v42, v35
	v_dual_mul_f32 v148, v62, v25 :: v_dual_fmac_f32 v99, v17, v26
	s_delay_alu instid0(VALU_DEP_3) | instskip(SKIP_2) | instid1(VALU_DEP_2)
	v_fma_f32 v164, v16, v26, -v22
	v_mul_f32_e32 v16, v19, v33
	v_fmac_f32_e32 v101, v19, v32
	v_fma_f32 v102, v18, v32, -v16
	v_mul_f32_e32 v16, v43, v35
	s_delay_alu instid0(VALU_DEP_1)
	v_fma_f32 v104, v42, v34, -v16
	s_clause 0x1
	global_load_b128 v[28:31], v[89:90], off offset:352
	global_load_b128 v[16:19], v[89:90], off offset:368
	s_wait_loadcnt 0x1
	v_dual_fmac_f32 v103, v43, v34 :: v_dual_mul_f32 v22, v45, v29
	v_mul_f32_e32 v105, v44, v29
	s_wait_loadcnt_dscnt 0x4
	v_mul_f32_e32 v109, v48, v17
	v_mul_f32_e32 v111, v20, v19
	v_fma_f32 v106, v44, v28, -v22
	v_dual_fmac_f32 v105, v45, v28 :: v_dual_mul_f32 v22, v47, v31
	s_delay_alu instid0(VALU_DEP_3) | instskip(NEXT) | instid1(VALU_DEP_2)
	v_fmac_f32_e32 v111, v21, v18
	v_fma_f32 v108, v46, v30, -v22
	v_mul_f32_e32 v22, v49, v17
	s_delay_alu instid0(VALU_DEP_1) | instskip(SKIP_1) | instid1(VALU_DEP_1)
	v_fma_f32 v110, v48, v16, -v22
	v_mul_f32_e32 v22, v21, v19
	v_fma_f32 v112, v20, v18, -v22
	s_clause 0x1
	global_load_b128 v[20:23], v[89:90], off offset:384
	global_load_b128 v[36:39], v[89:90], off offset:400
	v_mul_f32_e32 v107, v46, v31
	v_fmac_f32_e32 v109, v49, v16
	s_wait_loadcnt 0x1
	s_delay_alu instid0(VALU_DEP_2) | instskip(SKIP_3) | instid1(VALU_DEP_3)
	v_dual_mul_f32 v42, v41, v21 :: v_dual_fmac_f32 v107, v47, v30
	v_mul_f32_e32 v119, v40, v21
	s_wait_loadcnt_dscnt 0x3
	v_mul_f32_e32 v120, v66, v37
	v_fma_f32 v100, v40, v20, -v42
	v_mul_f32_e32 v40, v65, v23
	s_delay_alu instid0(VALU_DEP_3) | instskip(NEXT) | instid1(VALU_DEP_3)
	v_fmac_f32_e32 v120, v67, v36
	v_sub_f32_e32 v213, v112, v100
	s_delay_alu instid0(VALU_DEP_3) | instskip(SKIP_1) | instid1(VALU_DEP_4)
	v_fma_f32 v116, v64, v22, -v40
	v_mul_f32_e32 v40, v67, v37
	v_sub_f32_e32 v189, v107, v120
	s_delay_alu instid0(VALU_DEP_4) | instskip(NEXT) | instid1(VALU_DEP_4)
	v_mul_f32_e32 v191, 0xbe3c28d5, v213
	v_add_f32_e32 v135, v110, v116
	s_delay_alu instid0(VALU_DEP_4) | instskip(SKIP_3) | instid1(VALU_DEP_3)
	v_fma_f32 v114, v66, v36, -v40
	s_wait_dscnt 0x2
	v_dual_mul_f32 v40, v51, v39 :: v_dual_fmac_f32 v119, v41, v20
	v_dual_sub_f32 v197, v110, v116 :: v_dual_mul_f32 v162, 0xbf4c4adb, v189
	v_sub_f32_e32 v194, v108, v114
	s_delay_alu instid0(VALU_DEP_3)
	v_fma_f32 v66, v50, v38, -v40
	s_clause 0x1
	global_load_b128 v[40:43], v[89:90], off offset:416
	global_load_b128 v[44:47], v[89:90], off offset:432
	v_mul_f32_e32 v121, v64, v23
	v_mul_f32_e32 v161, 0x3eb8f4ab, v213
	;; [unrolled: 1-line block ×3, first 2 shown]
	v_dual_sub_f32 v181, v106, v66 :: v_dual_mul_f32 v222, 0xbeb8f4ab, v197
	v_mul_f32_e32 v235, 0x3f65296c, v213
	v_mul_f32_e32 v232, 0xbf2c7751, v189
	;; [unrolled: 1-line block ×3, first 2 shown]
	s_delay_alu instid0(VALU_DEP_4)
	v_mul_f32_e32 v158, 0xbf763a35, v181
	v_mul_f32_e32 v241, 0x3f7ee86f, v181
	;; [unrolled: 1-line block ×9, first 2 shown]
	s_wait_loadcnt 0x1
	v_mul_f32_e32 v48, v53, v41
	s_wait_dscnt 0x1
	v_dual_fmac_f32 v121, v65, v22 :: v_dual_mul_f32 v122, v54, v43
	s_wait_loadcnt 0x0
	v_dual_mul_f32 v115, v50, v39 :: v_dual_mul_f32 v118, v56, v45
	s_wait_dscnt 0x0
	v_mul_f32_e32 v65, v58, v47
	v_fma_f32 v67, v52, v40, -v48
	v_dual_mul_f32 v48, v55, v43 :: v_dual_mul_f32 v123, v52, v41
	v_fmac_f32_e32 v118, v57, v44
	v_fmac_f32_e32 v122, v55, v42
	;; [unrolled: 1-line block ×3, first 2 shown]
	s_delay_alu instid0(VALU_DEP_4) | instskip(SKIP_3) | instid1(VALU_DEP_4)
	v_fma_f32 v117, v54, v42, -v48
	v_mul_f32_e32 v48, v57, v45
	v_dual_fmac_f32 v123, v53, v40 :: v_dual_sub_f32 v168, v99, v118
	v_fmac_f32_e32 v65, v59, v46
	v_sub_f32_e32 v173, v102, v117
	s_delay_alu instid0(VALU_DEP_4) | instskip(SKIP_2) | instid1(VALU_DEP_4)
	v_fma_f32 v113, v56, v44, -v48
	v_mul_f32_e32 v48, v59, v47
	v_mul_f32_e32 v150, 0xbf2c7751, v168
	v_dual_sub_f32 v172, v103, v123 :: v_dual_mul_f32 v155, 0xbf65296c, v173
	s_delay_alu instid0(VALU_DEP_4) | instskip(NEXT) | instid1(VALU_DEP_4)
	v_sub_f32_e32 v170, v164, v113
	v_fma_f32 v98, v58, v46, -v48
	v_mul_f32_e32 v48, v63, v25
	s_delay_alu instid0(VALU_DEP_4) | instskip(NEXT) | instid1(VALU_DEP_4)
	v_dual_add_f32 v124, v99, v118 :: v_dual_mul_f32 v153, 0xbf7ee86f, v172
	v_dual_mul_f32 v152, 0xbf2c7751, v170 :: v_dual_add_f32 v125, v104, v67
	s_delay_alu instid0(VALU_DEP_3) | instskip(SKIP_1) | instid1(VALU_DEP_3)
	v_fma_f32 v221, v62, v24, -v48
	v_dual_add_f32 v62, v164, v113 :: v_dual_sub_f32 v169, v101, v122
	v_fma_f32 v50, 0x3f3d2fb0, v124, -v152
	v_add_f32_e32 v126, v101, v122
	s_delay_alu instid0(VALU_DEP_4) | instskip(SKIP_3) | instid1(VALU_DEP_4)
	v_sub_f32_e32 v186, v221, v98
	v_fmac_f32_e32 v148, v63, v24
	v_dual_add_f32 v154, v221, v98 :: v_dual_fmamk_f32 v49, v62, 0x3f3d2fb0, v150
	v_add_f32_e32 v63, v102, v117
	v_mul_f32_e32 v195, 0xbeb8f4ab, v186
	s_delay_alu instid0(VALU_DEP_4) | instskip(SKIP_3) | instid1(VALU_DEP_4)
	v_sub_f32_e32 v163, v148, v65
	v_add_f32_e32 v171, v148, v65
	v_dual_mul_f32 v151, 0xbf65296c, v169 :: v_dual_sub_f32 v174, v104, v67
	v_sub_f32_e32 v175, v105, v115
	v_mul_f32_e32 v184, 0xbeb8f4ab, v163
	v_add_f32_e32 v127, v103, v123
	s_delay_alu instid0(VALU_DEP_4) | instskip(NEXT) | instid1(VALU_DEP_4)
	v_dual_add_f32 v129, v105, v115 :: v_dual_mul_f32 v156, 0xbf7ee86f, v174
	v_mul_f32_e32 v157, 0xbf763a35, v175
	s_delay_alu instid0(VALU_DEP_4)
	v_fmamk_f32 v48, v154, 0x3f6eb680, v184
	v_mul_f32_e32 v176, 0xbf7ee86f, v168
	v_sub_f32_e32 v196, v109, v121
	v_add_f32_e32 v128, v106, v66
	v_dual_add_f32 v132, v107, v120 :: v_dual_mul_f32 v245, 0xbf2c7751, v163
	v_add_f32_e32 v48, v60, v48
	s_delay_alu instid0(VALU_DEP_4) | instskip(SKIP_1) | instid1(VALU_DEP_3)
	v_dual_mul_f32 v187, 0xbf06c442, v196 :: v_dual_sub_f32 v212, v111, v119
	v_dual_add_f32 v141, v111, v119 :: v_dual_mul_f32 v220, 0xbe3c28d5, v170
	v_add_f32_e32 v48, v49, v48
	v_fma_f32 v49, 0x3f6eb680, v171, -v195
	v_dual_add_f32 v140, v112, v100 :: v_dual_mul_f32 v177, 0xbf4c4adb, v169
	v_mul_f32_e32 v190, 0xbe3c28d5, v212
	v_fma_f32 v51, 0x3f6eb680, v141, -v161
	s_delay_alu instid0(VALU_DEP_4) | instskip(SKIP_3) | instid1(VALU_DEP_4)
	v_add_f32_e32 v49, v61, v49
	v_mul_f32_e32 v251, 0xbf2c7751, v186
	v_mul_f32_e32 v180, 0xbf7ee86f, v170
	v_dual_mul_f32 v182, 0xbf4c4adb, v173 :: v_dual_mul_f32 v207, 0xbf4c4adb, v170
	v_dual_add_f32 v49, v50, v49 :: v_dual_fmamk_f32 v50, v63, 0x3ee437d1, v151
	v_mul_f32_e32 v202, 0xbf4c4adb, v168
	v_mul_f32_e32 v178, 0xbe3c28d5, v172
	;; [unrolled: 1-line block ×3, first 2 shown]
	s_delay_alu instid0(VALU_DEP_4) | instskip(SKIP_4) | instid1(VALU_DEP_4)
	v_dual_mul_f32 v179, 0x3f06c442, v175 :: v_dual_add_f32 v48, v50, v48
	v_fma_f32 v50, 0x3ee437d1, v126, -v155
	v_mul_f32_e32 v133, 0xbf65296c, v163
	v_mul_f32_e32 v200, 0x3f763a35, v172
	;; [unrolled: 1-line block ×3, first 2 shown]
	v_dual_mul_f32 v134, 0xbf65296c, v186 :: v_dual_add_f32 v49, v50, v49
	v_fmamk_f32 v50, v125, 0x3dbcf732, v153
	v_fma_f32 v54, 0xbf7ba420, v124, -v220
	v_mul_f32_e32 v192, 0xbf06c442, v212
	v_fma_f32 v52, 0xbf1a4643, v124, -v207
	v_mul_f32_e32 v210, 0xbe3c28d5, v168
	v_add_f32_e32 v48, v50, v48
	v_fma_f32 v50, 0x3dbcf732, v127, -v156
	v_mul_f32_e32 v208, 0x3e3c28d5, v173
	v_fma_f32 v55, 0x3f3d2fb0, v141, -v219
	v_mul_f32_e32 v138, 0xbf7ee86f, v186
	v_mul_f32_e32 v64, 0x3f763a35, v173
	v_dual_add_f32 v49, v50, v49 :: v_dual_fmamk_f32 v50, v128, 0xbe8c1d8e, v157
	v_mul_f32_e32 v214, 0x3eb8f4ab, v172
	v_dual_mul_f32 v216, 0xbf06c442, v189 :: v_dual_mul_f32 v145, 0xbf06c442, v163
	s_delay_alu instid0(VALU_DEP_3) | instskip(SKIP_3) | instid1(VALU_DEP_4)
	v_dual_mul_f32 v225, 0x3f06c442, v170 :: v_dual_add_f32 v48, v50, v48
	v_fma_f32 v50, 0xbe8c1d8e, v129, -v158
	v_mul_f32_e32 v236, 0x3f763a35, v170
	v_mul_f32_e32 v142, 0xbf763a35, v186
	v_fma_f32 v56, 0xbf59a7d5, v124, -v225
	v_mul_f32_e32 v226, 0x3f2c7751, v173
	v_dual_add_f32 v49, v50, v49 :: v_dual_add_f32 v130, v108, v114
	v_dual_add_f32 v136, v109, v121 :: v_dual_mul_f32 v183, 0xbe3c28d5, v174
	v_dual_mul_f32 v188, 0xbf06c442, v197 :: v_dual_mul_f32 v239, 0xbf06c442, v174
	s_delay_alu instid0(VALU_DEP_3) | instskip(SKIP_3) | instid1(VALU_DEP_4)
	v_fmamk_f32 v50, v130, 0xbf1a4643, v162
	v_dual_mul_f32 v68, 0x3f763a35, v189 :: v_dual_mul_f32 v209, 0x3f763a35, v174
	v_fma_f32 v58, 0xbe8c1d8e, v124, -v236
	v_mul_f32_e32 v228, 0x3f763a35, v168
	v_add_f32_e32 v48, v50, v48
	v_fma_f32 v50, 0xbf1a4643, v132, -v166
	v_mul_f32_e32 v143, 0xbf4c4adb, v163
	v_fma_f32 v59, 0x3ee437d1, v141, -v235
	v_fmamk_f32 v57, v62, 0xbe8c1d8e, v228
	v_mul_f32_e32 v149, 0xbf4c4adb, v213
	v_dual_add_f32 v49, v50, v49 :: v_dual_fmamk_f32 v50, v135, 0xbf59a7d5, v187
	v_mul_f32_e32 v229, 0xbeb8f4ab, v169
	v_dual_mul_f32 v237, 0xbeb8f4ab, v173 :: v_dual_mul_f32 v246, 0xbeb8f4ab, v175
	v_mul_f32_e32 v230, 0xbf06c442, v172
	s_delay_alu instid0(VALU_DEP_4)
	v_add_f32_e32 v48, v50, v48
	v_fma_f32 v50, 0xbf59a7d5, v136, -v188
	v_mul_f32_e32 v231, 0x3f7ee86f, v175
	v_mul_f32_e32 v248, 0xbf7ee86f, v169
	;; [unrolled: 1-line block ×4, first 2 shown]
	v_dual_add_f32 v49, v50, v49 :: v_dual_fmamk_f32 v50, v140, 0xbf7ba420, v190
	v_mul_f32_e32 v167, 0x3f763a35, v194
	v_mul_f32_e32 v205, 0xbeb8f4ab, v194
	v_dual_mul_f32 v238, 0xbe3c28d5, v197 :: v_dual_mul_f32 v253, 0xbe3c28d5, v194
	s_delay_alu instid0(VALU_DEP_4) | instskip(SKIP_4) | instid1(VALU_DEP_4)
	v_add_f32_e32 v89, v50, v48
	v_fma_f32 v48, 0xbf7ba420, v141, -v191
	v_fma_f32 v50, 0x3dbcf732, v124, -v180
	v_mul_f32_e32 v146, 0xbf06c442, v186
	v_mul_f32_e32 v137, 0xbf7ee86f, v163
	v_dual_fmamk_f32 v53, v62, 0xbf7ba420, v210 :: v_dual_add_f32 v90, v48, v49
	v_fmamk_f32 v48, v154, 0x3f3d2fb0, v245
	v_fmamk_f32 v49, v62, 0x3dbcf732, v176
	v_mul_f32_e32 v160, 0x3f65296c, v196
	v_mul_f32_e32 v198, 0xbeb8f4ab, v189
	;; [unrolled: 1-line block ×3, first 2 shown]
	v_add_f32_e32 v48, v60, v48
	v_dual_mul_f32 v206, 0x3f2c7751, v181 :: v_dual_mul_f32 v243, 0x3f2c7751, v196
	v_mul_f32_e32 v217, 0x3f4c4adb, v196
	v_dual_mul_f32 v224, 0xbe3c28d5, v181 :: v_dual_mul_f32 v233, 0xbe3c28d5, v196
	s_delay_alu instid0(VALU_DEP_4)
	v_add_f32_e32 v48, v49, v48
	v_fma_f32 v49, 0x3f3d2fb0, v171, -v251
	v_mul_f32_e32 v211, 0x3f763a35, v169
	v_mul_f32_e32 v215, 0xbf65296c, v175
	;; [unrolled: 1-line block ×4, first 2 shown]
	v_add_f32_e32 v49, v61, v49
	v_mul_f32_e32 v223, 0x3f7ee86f, v194
	v_mul_f32_e32 v144, 0xbf4c4adb, v186
	v_mul_f32_e32 v255, 0x3f65296c, v170
	s_delay_alu instid0(VALU_DEP_4)
	v_dual_add_f32 v49, v50, v49 :: v_dual_fmamk_f32 v50, v63, 0xbf1a4643, v177
	v_mul_f32_e32 v159, 0x3eb8f4ab, v212
	v_mul_f32_e32 v218, 0x3f2c7751, v212
	;; [unrolled: 1-line block ×4, first 2 shown]
	v_add_f32_e32 v48, v50, v48
	v_fma_f32 v50, 0xbf1a4643, v126, -v182
	v_fma_f32 v93, 0x3ee437d1, v124, -v255
	s_delay_alu instid0(VALU_DEP_2) | instskip(NEXT) | instid1(VALU_DEP_1)
	v_dual_add_f32 v49, v50, v49 :: v_dual_fmamk_f32 v50, v125, 0xbf7ba420, v178
	v_add_f32_e32 v48, v50, v48
	v_fma_f32 v50, 0xbf7ba420, v127, -v183
	s_delay_alu instid0(VALU_DEP_1) | instskip(NEXT) | instid1(VALU_DEP_1)
	v_dual_add_f32 v49, v50, v49 :: v_dual_fmamk_f32 v50, v128, 0xbf59a7d5, v179
	v_add_f32_e32 v48, v50, v48
	v_fma_f32 v50, 0xbf59a7d5, v129, -v185
	s_delay_alu instid0(VALU_DEP_1) | instskip(SKIP_1) | instid1(VALU_DEP_1)
	v_add_f32_e32 v49, v50, v49
	v_fmamk_f32 v50, v130, 0xbe8c1d8e, v68
	v_add_f32_e32 v48, v50, v48
	v_fma_f32 v50, 0xbe8c1d8e, v132, -v167
	s_delay_alu instid0(VALU_DEP_1) | instskip(NEXT) | instid1(VALU_DEP_1)
	v_dual_add_f32 v49, v50, v49 :: v_dual_fmamk_f32 v50, v135, 0x3ee437d1, v160
	v_add_f32_e32 v48, v50, v48
	v_fma_f32 v50, 0x3ee437d1, v136, -v165
	s_delay_alu instid0(VALU_DEP_1) | instskip(NEXT) | instid1(VALU_DEP_1)
	v_dual_add_f32 v49, v50, v49 :: v_dual_fmamk_f32 v50, v140, 0x3f6eb680, v159
	v_dual_add_f32 v51, v51, v49 :: v_dual_add_f32 v50, v50, v48
	v_fmamk_f32 v48, v154, 0x3ee437d1, v133
	s_delay_alu instid0(VALU_DEP_1) | instskip(NEXT) | instid1(VALU_DEP_1)
	v_dual_fmamk_f32 v49, v62, 0xbf1a4643, v202 :: v_dual_add_f32 v48, v60, v48
	v_dual_add_f32 v48, v49, v48 :: v_dual_fmamk_f32 v49, v63, 0xbf7ba420, v201
	s_delay_alu instid0(VALU_DEP_1) | instskip(SKIP_1) | instid1(VALU_DEP_1)
	v_add_f32_e32 v48, v49, v48
	v_fmamk_f32 v49, v125, 0xbe8c1d8e, v200
	v_dual_add_f32 v48, v49, v48 :: v_dual_fmamk_f32 v49, v128, 0x3f3d2fb0, v199
	s_delay_alu instid0(VALU_DEP_1) | instskip(NEXT) | instid1(VALU_DEP_1)
	v_dual_add_f32 v48, v49, v48 :: v_dual_fmamk_f32 v49, v130, 0x3f6eb680, v198
	v_dual_add_f32 v48, v49, v48 :: v_dual_fmamk_f32 v49, v135, 0x3dbcf732, v193
	s_delay_alu instid0(VALU_DEP_1) | instskip(NEXT) | instid1(VALU_DEP_1)
	v_dual_add_f32 v48, v49, v48 :: v_dual_fmamk_f32 v49, v140, 0xbf59a7d5, v192
	v_add_f32_e32 v48, v49, v48
	v_fma_f32 v49, 0x3ee437d1, v171, -v134
	s_delay_alu instid0(VALU_DEP_1) | instskip(NEXT) | instid1(VALU_DEP_1)
	v_add_f32_e32 v49, v61, v49
	v_add_f32_e32 v49, v52, v49
	v_fma_f32 v52, 0xbf7ba420, v126, -v208
	s_delay_alu instid0(VALU_DEP_1) | instskip(SKIP_1) | instid1(VALU_DEP_1)
	v_add_f32_e32 v49, v52, v49
	v_fma_f32 v52, 0xbe8c1d8e, v127, -v209
	v_add_f32_e32 v49, v52, v49
	v_fma_f32 v52, 0x3f3d2fb0, v129, -v206
	s_delay_alu instid0(VALU_DEP_1) | instskip(SKIP_1) | instid1(VALU_DEP_1)
	v_add_f32_e32 v49, v52, v49
	v_fma_f32 v52, 0x3f6eb680, v132, -v205
	;; [unrolled: 5-line block ×3, first 2 shown]
	v_dual_add_f32 v49, v52, v49 :: v_dual_fmamk_f32 v52, v154, 0x3dbcf732, v137
	s_delay_alu instid0(VALU_DEP_1) | instskip(NEXT) | instid1(VALU_DEP_1)
	v_add_f32_e32 v52, v60, v52
	v_add_f32_e32 v52, v53, v52
	v_fma_f32 v53, 0x3dbcf732, v171, -v138
	s_delay_alu instid0(VALU_DEP_1) | instskip(NEXT) | instid1(VALU_DEP_1)
	v_add_f32_e32 v53, v61, v53
	v_dual_add_f32 v53, v54, v53 :: v_dual_fmamk_f32 v54, v63, 0xbe8c1d8e, v211
	s_delay_alu instid0(VALU_DEP_1) | instskip(SKIP_1) | instid1(VALU_DEP_1)
	v_add_f32_e32 v52, v54, v52
	v_fma_f32 v54, 0xbe8c1d8e, v126, -v64
	v_dual_add_f32 v53, v54, v53 :: v_dual_fmamk_f32 v54, v125, 0x3f6eb680, v214
	s_delay_alu instid0(VALU_DEP_1) | instskip(SKIP_3) | instid1(VALU_DEP_1)
	v_add_f32_e32 v52, v54, v52
	v_mul_f32_e32 v54, 0x3eb8f4ab, v174
	scratch_store_b32 off, v54, off offset:16 ; 4-byte Folded Spill
	v_fma_f32 v54, 0x3f6eb680, v127, -v54
	v_dual_add_f32 v53, v54, v53 :: v_dual_fmamk_f32 v54, v128, 0x3ee437d1, v215
	s_delay_alu instid0(VALU_DEP_1) | instskip(SKIP_3) | instid1(VALU_DEP_1)
	v_add_f32_e32 v52, v54, v52
	v_mul_f32_e32 v54, 0xbf65296c, v181
	scratch_store_b32 off, v54, off offset:24 ; 4-byte Folded Spill
	v_fma_f32 v54, 0x3ee437d1, v129, -v54
	v_add_f32_e32 v53, v54, v53
	v_fmamk_f32 v54, v130, 0xbf59a7d5, v216
	s_delay_alu instid0(VALU_DEP_1) | instskip(SKIP_3) | instid1(VALU_DEP_1)
	v_add_f32_e32 v52, v54, v52
	v_mul_f32_e32 v54, 0xbf06c442, v194
	scratch_store_b32 off, v54, off offset:20 ; 4-byte Folded Spill
	v_fma_f32 v54, 0xbf59a7d5, v132, -v54
	v_dual_add_f32 v53, v54, v53 :: v_dual_fmamk_f32 v54, v135, 0xbf1a4643, v217
	s_delay_alu instid0(VALU_DEP_1) | instskip(SKIP_3) | instid1(VALU_DEP_1)
	v_add_f32_e32 v52, v54, v52
	v_mul_f32_e32 v54, 0x3f4c4adb, v197
	scratch_store_b32 off, v54, off offset:12 ; 4-byte Folded Spill
	v_fma_f32 v54, 0xbf1a4643, v136, -v54
	v_dual_add_f32 v53, v54, v53 :: v_dual_fmamk_f32 v54, v140, 0x3f3d2fb0, v218
	s_delay_alu instid0(VALU_DEP_1) | instskip(SKIP_2) | instid1(VALU_DEP_2)
	v_dual_add_f32 v55, v55, v53 :: v_dual_add_f32 v54, v54, v52
	v_fmamk_f32 v52, v154, 0xbe8c1d8e, v139
	v_mul_f32_e32 v53, 0x3f06c442, v168
	v_add_f32_e32 v52, v60, v52
	scratch_store_b32 off, v53, off offset:52 ; 4-byte Folded Spill
	v_fmamk_f32 v53, v62, 0xbf59a7d5, v53
	s_delay_alu instid0(VALU_DEP_1) | instskip(SKIP_2) | instid1(VALU_DEP_1)
	v_dual_add_f32 v52, v53, v52 :: v_dual_mul_f32 v53, 0x3f2c7751, v169
	scratch_store_b32 off, v53, off offset:48 ; 4-byte Folded Spill
	v_fmamk_f32 v53, v63, 0x3f3d2fb0, v53
	v_add_f32_e32 v52, v53, v52
	v_mul_f32_e32 v53, 0xbf65296c, v172
	scratch_store_b32 off, v53, off offset:44 ; 4-byte Folded Spill
	v_fmamk_f32 v53, v125, 0x3ee437d1, v53
	s_delay_alu instid0(VALU_DEP_1) | instskip(SKIP_2) | instid1(VALU_DEP_1)
	v_dual_add_f32 v52, v53, v52 :: v_dual_mul_f32 v53, 0xbe3c28d5, v175
	scratch_store_b32 off, v53, off offset:40 ; 4-byte Folded Spill
	v_fmamk_f32 v53, v128, 0xbf7ba420, v53
	v_dual_add_f32 v52, v53, v52 :: v_dual_mul_f32 v53, 0x3f7ee86f, v189
	scratch_store_b32 off, v53, off offset:36 ; 4-byte Folded Spill
	v_fmamk_f32 v53, v130, 0x3dbcf732, v53
	s_delay_alu instid0(VALU_DEP_1) | instskip(SKIP_3) | instid1(VALU_DEP_1)
	v_add_f32_e32 v52, v53, v52
	v_mul_f32_e32 v53, 0xbeb8f4ab, v196
	scratch_store_b32 off, v53, off offset:32 ; 4-byte Folded Spill
	v_fmamk_f32 v53, v135, 0x3f6eb680, v53
	v_add_f32_e32 v52, v53, v52
	v_mul_f32_e32 v53, 0xbf4c4adb, v212
	scratch_store_b32 off, v53, off offset:28 ; 4-byte Folded Spill
	v_fmamk_f32 v53, v140, 0xbf1a4643, v53
	s_delay_alu instid0(VALU_DEP_1) | instskip(SKIP_1) | instid1(VALU_DEP_1)
	v_add_f32_e32 v52, v53, v52
	v_fma_f32 v53, 0xbe8c1d8e, v171, -v142
	v_add_f32_e32 v53, v61, v53
	s_delay_alu instid0(VALU_DEP_1) | instskip(SKIP_1) | instid1(VALU_DEP_1)
	v_add_f32_e32 v53, v56, v53
	v_fma_f32 v56, 0x3f3d2fb0, v126, -v226
	v_add_f32_e32 v53, v56, v53
	v_fma_f32 v56, 0x3ee437d1, v127, -v227
	s_delay_alu instid0(VALU_DEP_1) | instskip(SKIP_1) | instid1(VALU_DEP_1)
	v_add_f32_e32 v53, v56, v53
	v_fma_f32 v56, 0xbf7ba420, v129, -v224
	v_add_f32_e32 v53, v56, v53
	v_fma_f32 v56, 0x3dbcf732, v132, -v223
	;; [unrolled: 5-line block ×3, first 2 shown]
	s_delay_alu instid0(VALU_DEP_1) | instskip(NEXT) | instid1(VALU_DEP_1)
	v_dual_add_f32 v53, v56, v53 :: v_dual_fmamk_f32 v56, v154, 0xbf1a4643, v143
	v_add_f32_e32 v56, v60, v56
	s_delay_alu instid0(VALU_DEP_1) | instskip(SKIP_1) | instid1(VALU_DEP_1)
	v_add_f32_e32 v56, v57, v56
	v_fma_f32 v57, 0xbf1a4643, v171, -v144
	v_add_f32_e32 v57, v61, v57
	s_delay_alu instid0(VALU_DEP_1) | instskip(NEXT) | instid1(VALU_DEP_1)
	v_dual_add_f32 v57, v58, v57 :: v_dual_fmamk_f32 v58, v63, 0x3f6eb680, v229
	v_add_f32_e32 v56, v58, v56
	v_fma_f32 v58, 0x3f6eb680, v126, -v237
	s_delay_alu instid0(VALU_DEP_1) | instskip(NEXT) | instid1(VALU_DEP_1)
	v_dual_add_f32 v57, v58, v57 :: v_dual_fmamk_f32 v58, v125, 0xbf59a7d5, v230
	v_add_f32_e32 v56, v58, v56
	v_fma_f32 v58, 0xbf59a7d5, v127, -v239
	;; [unrolled: 4-line block ×3, first 2 shown]
	s_delay_alu instid0(VALU_DEP_1) | instskip(SKIP_2) | instid1(VALU_DEP_2)
	v_add_f32_e32 v57, v58, v57
	v_fmamk_f32 v58, v130, 0x3f3d2fb0, v232
	v_mul_f32_e32 v240, 0xbf2c7751, v194
	v_add_f32_e32 v56, v58, v56
	s_delay_alu instid0(VALU_DEP_2) | instskip(NEXT) | instid1(VALU_DEP_1)
	v_fma_f32 v58, 0x3f3d2fb0, v132, -v240
	v_dual_add_f32 v57, v58, v57 :: v_dual_fmamk_f32 v58, v135, 0xbf7ba420, v233
	s_delay_alu instid0(VALU_DEP_1) | instskip(SKIP_1) | instid1(VALU_DEP_1)
	v_add_f32_e32 v56, v58, v56
	v_fma_f32 v58, 0xbf7ba420, v136, -v238
	v_dual_add_f32 v57, v58, v57 :: v_dual_fmamk_f32 v58, v140, 0x3ee437d1, v234
	s_delay_alu instid0(VALU_DEP_1) | instskip(SKIP_1) | instid1(VALU_DEP_3)
	v_add_f32_e32 v59, v59, v57
	v_fmamk_f32 v57, v62, 0x3ee437d1, v249
	v_add_f32_e32 v58, v58, v56
	v_fmamk_f32 v56, v154, 0xbf59a7d5, v145
	s_delay_alu instid0(VALU_DEP_1) | instskip(NEXT) | instid1(VALU_DEP_1)
	v_add_f32_e32 v56, v60, v56
	v_dual_add_f32 v56, v57, v56 :: v_dual_fmamk_f32 v57, v63, 0x3dbcf732, v248
	s_delay_alu instid0(VALU_DEP_1) | instskip(SKIP_1) | instid1(VALU_DEP_1)
	v_add_f32_e32 v56, v57, v56
	v_fmamk_f32 v57, v125, 0xbf1a4643, v247
	v_dual_add_f32 v56, v57, v56 :: v_dual_fmamk_f32 v57, v128, 0x3f6eb680, v246
	s_delay_alu instid0(VALU_DEP_1) | instskip(NEXT) | instid1(VALU_DEP_1)
	v_dual_add_f32 v56, v57, v56 :: v_dual_fmamk_f32 v57, v130, 0xbf7ba420, v244
	v_dual_add_f32 v56, v57, v56 :: v_dual_fmamk_f32 v57, v135, 0x3f3d2fb0, v243
	s_delay_alu instid0(VALU_DEP_1) | instskip(NEXT) | instid1(VALU_DEP_1)
	v_dual_add_f32 v56, v57, v56 :: v_dual_fmamk_f32 v57, v140, 0xbe8c1d8e, v242
	v_add_f32_e32 v56, v57, v56
	v_fma_f32 v57, 0xbf59a7d5, v171, -v146
	s_delay_alu instid0(VALU_DEP_1) | instskip(NEXT) | instid1(VALU_DEP_1)
	v_add_f32_e32 v57, v61, v57
	v_add_f32_e32 v57, v93, v57
	v_mul_f32_e32 v93, 0xbf7ee86f, v173
	s_delay_alu instid0(VALU_DEP_1) | instskip(NEXT) | instid1(VALU_DEP_1)
	v_fma_f32 v131, 0x3dbcf732, v126, -v93
	v_add_f32_e32 v57, v131, v57
	v_mul_f32_e32 v131, 0x3f4c4adb, v174
	s_delay_alu instid0(VALU_DEP_1) | instskip(NEXT) | instid1(VALU_DEP_1)
	v_fma_f32 v250, 0xbf1a4643, v127, -v131
	v_add_f32_e32 v57, v250, v57
	v_fma_f32 v250, 0x3f6eb680, v129, -v254
	s_delay_alu instid0(VALU_DEP_1) | instskip(SKIP_1) | instid1(VALU_DEP_1)
	v_add_f32_e32 v57, v250, v57
	v_fma_f32 v250, 0xbf7ba420, v132, -v253
	v_add_f32_e32 v57, v250, v57
	v_fma_f32 v250, 0x3f3d2fb0, v136, -v252
	s_delay_alu instid0(VALU_DEP_1) | instskip(SKIP_1) | instid1(VALU_DEP_1)
	v_add_f32_e32 v57, v250, v57
	v_mul_f32_e32 v250, 0xbf763a35, v213
	v_fma_f32 v147, 0xbe8c1d8e, v141, -v250
	s_delay_alu instid0(VALU_DEP_1)
	v_add_f32_e32 v57, v147, v57
	s_and_saveexec_b32 s0, vcc_lo
	s_cbranch_execz .LBB0_5
; %bb.4:
	s_clause 0x4
	scratch_store_b32 off, v161, off offset:56
	scratch_store_b32 off, v159, off offset:64
	;; [unrolled: 1-line block ×5, first 2 shown]
	scratch_load_b32 v98, off, off offset:52 th:TH_LOAD_LU ; 4-byte Folded Reload
	v_mul_f32_e32 v147, 0xbf59a7d5, v171
	v_mov_b32_e32 v161, v156
	v_mul_f32_e32 v163, 0xbe3c28d5, v163
	v_mul_f32_e32 v169, 0xbf06c442, v169
	;; [unrolled: 1-line block ×3, first 2 shown]
	v_dual_add_f32 v146, v146, v147 :: v_dual_mul_f32 v147, 0xbf59a7d5, v154
	v_mul_f32_e32 v170, 0x3eb8f4ab, v170
	v_mul_f32_e32 v186, 0xbe3c28d5, v186
	v_mov_b32_e32 v156, v150
	s_delay_alu instid0(VALU_DEP_4) | instskip(SKIP_3) | instid1(VALU_DEP_3)
	v_dual_add_f32 v146, v61, v146 :: v_dual_sub_f32 v145, v147, v145
	v_dual_mul_f32 v147, 0xbf1a4643, v171 :: v_dual_mov_b32 v68, v162
	v_dual_mov_b32 v162, v157 :: v_dual_mov_b32 v157, v151
	v_mul_f32_e32 v172, 0x3f2c7751, v172
	v_dual_add_f32 v144, v144, v147 :: v_dual_mul_f32 v147, 0xbf1a4643, v154
	s_delay_alu instid0(VALU_DEP_1) | instskip(NEXT) | instid1(VALU_DEP_2)
	v_dual_add_f32 v145, v60, v145 :: v_dual_add_f32 v144, v61, v144
	v_sub_f32_e32 v143, v147, v143
	v_mul_f32_e32 v147, 0xbe8c1d8e, v171
	s_delay_alu instid0(VALU_DEP_2) | instskip(NEXT) | instid1(VALU_DEP_2)
	v_add_f32_e32 v143, v60, v143
	v_dual_add_f32 v142, v142, v147 :: v_dual_mul_f32 v147, 0xbe8c1d8e, v154
	s_delay_alu instid0(VALU_DEP_1) | instskip(SKIP_1) | instid1(VALU_DEP_2)
	v_dual_add_f32 v142, v61, v142 :: v_dual_sub_f32 v139, v147, v139
	v_mul_f32_e32 v147, 0x3dbcf732, v171
	v_add_f32_e32 v139, v60, v139
	s_delay_alu instid0(VALU_DEP_2) | instskip(NEXT) | instid1(VALU_DEP_1)
	v_dual_add_f32 v138, v138, v147 :: v_dual_mul_f32 v147, 0x3dbcf732, v154
	v_sub_f32_e32 v137, v147, v137
	v_mul_f32_e32 v147, 0x3ee437d1, v171
	s_delay_alu instid0(VALU_DEP_1) | instskip(NEXT) | instid1(VALU_DEP_3)
	v_dual_add_f32 v134, v134, v147 :: v_dual_mul_f32 v147, 0x3ee437d1, v154
	v_dual_add_f32 v150, v60, v137 :: v_dual_mul_f32 v137, 0xbe8c1d8e, v62
	s_delay_alu instid0(VALU_DEP_2) | instskip(NEXT) | instid1(VALU_DEP_3)
	v_add_f32_e32 v151, v61, v134
	v_sub_f32_e32 v133, v147, v133
	v_dual_mul_f32 v147, 0x3f3d2fb0, v171 :: v_dual_mov_b32 v134, v221
	v_mov_b32_e32 v221, v183
	v_mov_b32_e32 v183, v177
	;; [unrolled: 1-line block ×3, first 2 shown]
	s_delay_alu instid0(VALU_DEP_4) | instskip(SKIP_3) | instid1(VALU_DEP_3)
	v_add_f32_e32 v147, v251, v147
	v_mul_f32_e32 v251, 0x3f3d2fb0, v154
	v_dual_mov_b32 v67, v66 :: v_dual_mov_b32 v66, v164
	v_mov_b32_e32 v164, v158
	v_dual_mov_b32 v158, v152 :: v_dual_sub_f32 v245, v251, v245
	v_dual_mul_f32 v251, 0x3f6eb680, v171 :: v_dual_add_f32 v152, v60, v133
	v_add_f32_e32 v160, v60, v134
	s_delay_alu instid0(VALU_DEP_3) | instskip(NEXT) | instid1(VALU_DEP_3)
	v_dual_mul_f32 v134, 0x3dbcf732, v126 :: v_dual_add_f32 v245, v60, v245
	v_add_f32_e32 v195, v195, v251
	v_mul_f32_e32 v251, 0x3f6eb680, v154
	v_add_f32_e32 v159, v61, v147
	s_delay_alu instid0(VALU_DEP_4) | instskip(NEXT) | instid1(VALU_DEP_3)
	v_dual_add_f32 v93, v93, v134 :: v_dual_mul_f32 v134, 0x3dbcf732, v63
	v_dual_add_f32 v147, v61, v195 :: v_dual_sub_f32 v184, v251, v184
	v_fmamk_f32 v251, v171, 0xbf7ba420, v186
	v_fma_f32 v171, 0xbf7ba420, v171, -v186
	v_fma_f32 v186, 0xbf7ba420, v154, -v163
	s_delay_alu instid0(VALU_DEP_4) | instskip(NEXT) | instid1(VALU_DEP_4)
	v_dual_fmac_f32 v163, 0xbf7ba420, v154 :: v_dual_add_f32 v184, v60, v184
	v_add_f32_e32 v154, v61, v251
	v_add_f32_e32 v251, v61, v138
	s_delay_alu instid0(VALU_DEP_4) | instskip(NEXT) | instid1(VALU_DEP_4)
	v_add_f32_e32 v186, v60, v186
	v_add_f32_e32 v163, v60, v163
	v_dual_fmamk_f32 v60, v124, 0x3f6eb680, v170 :: v_dual_add_f32 v195, v61, v148
	v_dual_add_f32 v171, v61, v171 :: v_dual_sub_f32 v134, v134, v248
	v_mul_f32_e32 v138, 0x3f3d2fb0, v132
	s_delay_alu instid0(VALU_DEP_3)
	v_add_f32_e32 v60, v60, v154
	v_mul_f32_e32 v154, 0x3eb8f4ab, v168
	v_mul_f32_e32 v168, 0xbf06c442, v173
	;; [unrolled: 1-line block ×5, first 2 shown]
	v_fma_f32 v61, 0x3f6eb680, v62, -v154
	v_dual_fmamk_f32 v133, v126, 0xbf59a7d5, v168 :: v_dual_add_f32 v138, v240, v138
	v_mul_f32_e32 v194, 0xbf763a35, v196
	s_delay_alu instid0(VALU_DEP_3) | instskip(NEXT) | instid1(VALU_DEP_3)
	v_dual_mul_f32 v196, 0x3f7ee86f, v213 :: v_dual_add_f32 v61, v61, v186
	v_add_f32_e32 v60, v133, v60
	v_fma_f32 v133, 0xbf59a7d5, v63, -v169
	v_mul_f32_e32 v186, 0x3f65296c, v189
	v_mul_f32_e32 v189, 0xbf763a35, v197
	;; [unrolled: 1-line block ×3, first 2 shown]
	v_sub_f32_e32 v137, v137, v228
	v_add_f32_e32 v61, v133, v61
	v_fmamk_f32 v133, v127, 0x3f3d2fb0, v173
	v_fmac_f32_e32 v154, 0x3f6eb680, v62
	s_delay_alu instid0(VALU_DEP_2) | instskip(SKIP_2) | instid1(VALU_DEP_2)
	v_add_f32_e32 v60, v133, v60
	v_fma_f32 v133, 0x3f3d2fb0, v125, -v172
	v_fmac_f32_e32 v172, 0x3f3d2fb0, v125
	v_add_f32_e32 v61, v133, v61
	v_fmamk_f32 v133, v129, 0xbf1a4643, v174
	s_delay_alu instid0(VALU_DEP_1) | instskip(SKIP_1) | instid1(VALU_DEP_1)
	v_add_f32_e32 v60, v133, v60
	v_fma_f32 v133, 0xbf1a4643, v128, -v175
	v_add_f32_e32 v61, v133, v61
	v_fmamk_f32 v133, v132, 0x3ee437d1, v181
	s_delay_alu instid0(VALU_DEP_1) | instskip(SKIP_1) | instid1(VALU_DEP_1)
	v_add_f32_e32 v60, v133, v60
	v_fma_f32 v133, 0x3ee437d1, v130, -v186
	v_dual_fmac_f32 v186, 0x3ee437d1, v130 :: v_dual_add_f32 v61, v133, v61
	v_fmamk_f32 v133, v136, 0xbe8c1d8e, v189
	s_delay_alu instid0(VALU_DEP_1) | instskip(SKIP_1) | instid1(VALU_DEP_1)
	v_add_f32_e32 v60, v133, v60
	v_fma_f32 v133, 0xbe8c1d8e, v135, -v194
	v_dual_fmac_f32 v194, 0xbe8c1d8e, v135 :: v_dual_add_f32 v133, v133, v61
	v_fmamk_f32 v61, v141, 0x3dbcf732, v196
	s_delay_alu instid0(VALU_DEP_1) | instskip(SKIP_1) | instid1(VALU_DEP_1)
	v_add_f32_e32 v61, v61, v60
	v_fma_f32 v60, 0x3dbcf732, v140, -v197
	v_dual_add_f32 v60, v60, v133 :: v_dual_mul_f32 v133, 0x3ee437d1, v124
	s_delay_alu instid0(VALU_DEP_1) | instskip(NEXT) | instid1(VALU_DEP_1)
	v_add_f32_e32 v133, v255, v133
	v_dual_add_f32 v133, v133, v146 :: v_dual_mul_f32 v146, 0xbf7ba420, v63
	s_delay_alu instid0(VALU_DEP_1) | instskip(NEXT) | instid1(VALU_DEP_2)
	v_add_f32_e32 v93, v93, v133
	v_dual_mul_f32 v133, 0xbf1a4643, v127 :: v_dual_sub_f32 v146, v146, v201
	s_delay_alu instid0(VALU_DEP_1) | instskip(SKIP_1) | instid1(VALU_DEP_2)
	v_add_f32_e32 v131, v131, v133
	v_mul_f32_e32 v133, 0x3ee437d1, v62
	v_add_f32_e32 v93, v131, v93
	s_delay_alu instid0(VALU_DEP_2) | instskip(SKIP_1) | instid1(VALU_DEP_2)
	v_sub_f32_e32 v133, v133, v249
	v_mul_f32_e32 v131, 0x3f6eb680, v129
	v_add_f32_e32 v133, v133, v145
	s_delay_alu instid0(VALU_DEP_2) | instskip(NEXT) | instid1(VALU_DEP_2)
	v_add_f32_e32 v131, v254, v131
	v_add_f32_e32 v133, v134, v133
	s_delay_alu instid0(VALU_DEP_2) | instskip(SKIP_1) | instid1(VALU_DEP_1)
	v_add_f32_e32 v93, v131, v93
	v_mul_f32_e32 v131, 0xbf7ba420, v132
	v_dual_mul_f32 v134, 0xbf1a4643, v125 :: v_dual_add_f32 v131, v253, v131
	s_delay_alu instid0(VALU_DEP_1) | instskip(NEXT) | instid1(VALU_DEP_1)
	v_dual_sub_f32 v134, v134, v247 :: v_dual_add_f32 v93, v131, v93
	v_add_f32_e32 v131, v134, v133
	v_mul_f32_e32 v133, 0x3f6eb680, v128
	s_delay_alu instid0(VALU_DEP_1) | instskip(NEXT) | instid1(VALU_DEP_1)
	v_dual_mul_f32 v134, 0x3f3d2fb0, v136 :: v_dual_sub_f32 v133, v133, v246
	v_dual_add_f32 v134, v252, v134 :: v_dual_add_f32 v131, v133, v131
	v_mul_f32_e32 v133, 0xbf7ba420, v130
	s_delay_alu instid0(VALU_DEP_2) | instskip(NEXT) | instid1(VALU_DEP_2)
	v_add_f32_e32 v93, v134, v93
	v_dual_mul_f32 v134, 0xbe8c1d8e, v141 :: v_dual_sub_f32 v133, v133, v244
	s_delay_alu instid0(VALU_DEP_1) | instskip(NEXT) | instid1(VALU_DEP_2)
	v_dual_add_f32 v134, v250, v134 :: v_dual_fmac_f32 v169, 0xbf59a7d5, v63
	v_add_f32_e32 v131, v133, v131
	s_delay_alu instid0(VALU_DEP_2) | instskip(SKIP_1) | instid1(VALU_DEP_2)
	v_dual_mul_f32 v133, 0x3f3d2fb0, v135 :: v_dual_add_f32 v134, v134, v93
	v_mul_f32_e32 v93, 0xbe8c1d8e, v124
	v_sub_f32_e32 v133, v133, v243
	s_delay_alu instid0(VALU_DEP_2) | instskip(NEXT) | instid1(VALU_DEP_2)
	v_add_f32_e32 v93, v236, v93
	v_add_f32_e32 v131, v133, v131
	v_mul_f32_e32 v133, 0xbe8c1d8e, v140
	s_delay_alu instid0(VALU_DEP_3) | instskip(NEXT) | instid1(VALU_DEP_2)
	v_add_f32_e32 v93, v93, v144
	v_dual_mul_f32 v144, 0xbf59a7d5, v132 :: v_dual_sub_f32 v133, v133, v242
	s_delay_alu instid0(VALU_DEP_1) | instskip(SKIP_1) | instid1(VALU_DEP_1)
	v_add_f32_e32 v133, v133, v131
	v_mul_f32_e32 v131, 0x3f6eb680, v126
	v_add_f32_e32 v131, v237, v131
	s_delay_alu instid0(VALU_DEP_1) | instskip(SKIP_1) | instid1(VALU_DEP_1)
	v_add_f32_e32 v93, v131, v93
	v_mul_f32_e32 v131, 0xbf59a7d5, v127
	v_add_f32_e32 v131, v239, v131
	;; [unrolled: 4-line block ×3, first 2 shown]
	s_delay_alu instid0(VALU_DEP_1) | instskip(SKIP_2) | instid1(VALU_DEP_3)
	v_add_f32_e32 v93, v131, v93
	v_add_f32_e32 v131, v137, v143
	v_mul_f32_e32 v137, 0x3f6eb680, v63
	v_dual_add_f32 v93, v138, v93 :: v_dual_mul_f32 v138, 0xbf7ba420, v136
	s_delay_alu instid0(VALU_DEP_1) | instskip(NEXT) | instid1(VALU_DEP_1)
	v_dual_sub_f32 v137, v137, v229 :: v_dual_add_f32 v138, v238, v138
	v_add_f32_e32 v131, v137, v131
	v_mul_f32_e32 v137, 0xbf59a7d5, v125
	s_delay_alu instid0(VALU_DEP_3) | instskip(NEXT) | instid1(VALU_DEP_2)
	v_add_f32_e32 v93, v138, v93
	v_dual_mul_f32 v138, 0x3ee437d1, v141 :: v_dual_sub_f32 v137, v137, v230
	s_delay_alu instid0(VALU_DEP_1) | instskip(SKIP_1) | instid1(VALU_DEP_2)
	v_dual_add_f32 v138, v235, v138 :: v_dual_add_f32 v131, v137, v131
	v_mul_f32_e32 v137, 0x3dbcf732, v128
	v_dual_fmac_f32 v175, 0xbf1a4643, v128 :: v_dual_add_f32 v138, v138, v93
	v_mul_f32_e32 v93, 0xbf59a7d5, v124
	s_delay_alu instid0(VALU_DEP_3) | instskip(NEXT) | instid1(VALU_DEP_2)
	v_sub_f32_e32 v137, v137, v231
	v_add_f32_e32 v93, v225, v93
	s_delay_alu instid0(VALU_DEP_2) | instskip(SKIP_1) | instid1(VALU_DEP_3)
	v_add_f32_e32 v131, v137, v131
	v_mul_f32_e32 v137, 0x3f3d2fb0, v130
	v_add_f32_e32 v93, v93, v142
	s_delay_alu instid0(VALU_DEP_2) | instskip(SKIP_1) | instid1(VALU_DEP_1)
	v_dual_mul_f32 v142, 0xbf59a7d5, v62 :: v_dual_sub_f32 v137, v137, v232
	s_wait_loadcnt 0x0
	v_sub_f32_e32 v142, v142, v98
	scratch_load_b32 v98, off, off offset:48 th:TH_LOAD_LU ; 4-byte Folded Reload
	v_add_f32_e32 v131, v137, v131
	v_mul_f32_e32 v137, 0xbf7ba420, v135
	v_add_f32_e32 v139, v142, v139
	s_delay_alu instid0(VALU_DEP_2) | instskip(NEXT) | instid1(VALU_DEP_1)
	v_dual_mul_f32 v142, 0x3f3d2fb0, v63 :: v_dual_sub_f32 v137, v137, v233
	v_add_f32_e32 v131, v137, v131
	v_mul_f32_e32 v137, 0x3ee437d1, v140
	s_delay_alu instid0(VALU_DEP_1) | instskip(NEXT) | instid1(VALU_DEP_1)
	v_sub_f32_e32 v137, v137, v234
	v_add_f32_e32 v137, v137, v131
	v_mul_f32_e32 v131, 0x3f3d2fb0, v126
	s_delay_alu instid0(VALU_DEP_1) | instskip(NEXT) | instid1(VALU_DEP_1)
	v_add_f32_e32 v131, v226, v131
	v_add_f32_e32 v93, v131, v93
	v_mul_f32_e32 v131, 0x3ee437d1, v127
	s_delay_alu instid0(VALU_DEP_1) | instskip(NEXT) | instid1(VALU_DEP_1)
	v_add_f32_e32 v131, v227, v131
	v_add_f32_e32 v93, v131, v93
	v_mul_f32_e32 v131, 0xbf7ba420, v129
	s_delay_alu instid0(VALU_DEP_1) | instskip(SKIP_1) | instid1(VALU_DEP_1)
	v_add_f32_e32 v131, v224, v131
	s_wait_loadcnt 0x0
	v_dual_add_f32 v93, v131, v93 :: v_dual_sub_f32 v142, v142, v98
	scratch_load_b32 v98, off, off offset:44 th:TH_LOAD_LU ; 4-byte Folded Reload
	v_fmac_f32_e32 v197, 0x3dbcf732, v140
	v_mul_f32_e32 v131, 0x3dbcf732, v132
	v_dual_add_f32 v139, v142, v139 :: v_dual_mul_f32 v142, 0x3ee437d1, v125
	s_delay_alu instid0(VALU_DEP_2) | instskip(SKIP_1) | instid1(VALU_DEP_1)
	v_add_f32_e32 v131, v223, v131
	s_wait_loadcnt 0x0
	v_dual_add_f32 v93, v131, v93 :: v_dual_sub_f32 v142, v142, v98
	scratch_load_b32 v98, off, off offset:40 th:TH_LOAD_LU ; 4-byte Folded Reload
	v_add_f32_e32 v131, v142, v139
	v_mul_f32_e32 v139, 0xbf7ba420, v128
	v_mul_f32_e32 v142, 0x3f6eb680, v136
	s_delay_alu instid0(VALU_DEP_1) | instskip(NEXT) | instid1(VALU_DEP_1)
	v_add_f32_e32 v142, v222, v142
	v_add_f32_e32 v93, v142, v93
	v_mul_f32_e32 v142, 0xbf1a4643, v141
	s_delay_alu instid0(VALU_DEP_1) | instskip(NEXT) | instid1(VALU_DEP_1)
	v_add_f32_e32 v142, v149, v142
	v_add_f32_e32 v143, v142, v93
	;; [unrolled: 4-line block ×3, first 2 shown]
	s_wait_loadcnt 0x0
	v_sub_f32_e32 v139, v139, v98
	scratch_load_b32 v98, off, off offset:36 th:TH_LOAD_LU ; 4-byte Folded Reload
	v_add_f32_e32 v131, v139, v131
	v_mul_f32_e32 v139, 0x3dbcf732, v130
	s_wait_loadcnt 0x0
	s_delay_alu instid0(VALU_DEP_1) | instskip(SKIP_4) | instid1(VALU_DEP_1)
	v_sub_f32_e32 v139, v139, v98
	scratch_load_b32 v98, off, off offset:32 th:TH_LOAD_LU ; 4-byte Folded Reload
	v_add_f32_e32 v131, v139, v131
	v_mul_f32_e32 v139, 0x3f6eb680, v135
	s_wait_loadcnt 0x0
	v_sub_f32_e32 v139, v139, v98
	scratch_load_b32 v98, off, off offset:28 th:TH_LOAD_LU ; 4-byte Folded Reload
	v_add_f32_e32 v131, v139, v131
	v_mul_f32_e32 v139, 0xbf1a4643, v140
	s_wait_loadcnt 0x0
	s_delay_alu instid0(VALU_DEP_1) | instskip(SKIP_1) | instid1(VALU_DEP_2)
	v_sub_f32_e32 v139, v139, v98
	v_add_f32_e32 v98, v160, v66
	v_dual_add_f32 v142, v139, v131 :: v_dual_mul_f32 v131, 0xbe8c1d8e, v126
	v_mul_f32_e32 v139, 0xbf7ba420, v62
	s_delay_alu instid0(VALU_DEP_2) | instskip(SKIP_3) | instid1(VALU_DEP_2)
	v_dual_add_f32 v98, v98, v102 :: v_dual_add_f32 v131, v64, v131
	scratch_load_b32 v64, off, off offset:16 th:TH_LOAD_LU ; 4-byte Folded Reload
	v_dual_sub_f32 v139, v139, v210 :: v_dual_add_f32 v98, v98, v104
	v_add_f32_e32 v93, v131, v93
	v_dual_mul_f32 v131, 0x3f6eb680, v127 :: v_dual_add_f32 v98, v98, v106
	s_delay_alu instid0(VALU_DEP_1) | instskip(NEXT) | instid1(VALU_DEP_1)
	v_add_f32_e32 v98, v98, v108
	v_add_f32_e32 v98, v98, v110
	s_delay_alu instid0(VALU_DEP_1) | instskip(NEXT) | instid1(VALU_DEP_1)
	v_add_f32_e32 v98, v98, v112
	v_add_f32_e32 v98, v98, v100
	v_mul_f32_e32 v100, 0xbf1a4643, v63
	s_delay_alu instid0(VALU_DEP_2) | instskip(NEXT) | instid1(VALU_DEP_2)
	v_add_f32_e32 v98, v98, v116
	v_sub_f32_e32 v100, v100, v183
	s_delay_alu instid0(VALU_DEP_2) | instskip(NEXT) | instid1(VALU_DEP_1)
	v_add_f32_e32 v98, v98, v114
	v_dual_add_f32 v66, v98, v67 :: v_dual_mul_f32 v67, 0x3dbcf732, v124
	v_mul_f32_e32 v98, 0x3dbcf732, v62
	s_delay_alu instid0(VALU_DEP_2) | instskip(NEXT) | instid1(VALU_DEP_2)
	v_dual_add_f32 v66, v66, v177 :: v_dual_add_f32 v67, v180, v67
	v_sub_f32_e32 v98, v98, v176
	s_delay_alu instid0(VALU_DEP_2) | instskip(NEXT) | instid1(VALU_DEP_2)
	v_dual_add_f32 v66, v66, v117 :: v_dual_add_f32 v67, v67, v159
	v_add_f32_e32 v98, v98, v245
	s_delay_alu instid0(VALU_DEP_2) | instskip(NEXT) | instid1(VALU_DEP_2)
	v_add_f32_e32 v66, v66, v113
	v_add_f32_e32 v98, v100, v98
	v_mul_f32_e32 v100, 0xbf7ba420, v125
	s_delay_alu instid0(VALU_DEP_1) | instskip(NEXT) | instid1(VALU_DEP_1)
	v_sub_f32_e32 v100, v100, v178
	v_add_f32_e32 v98, v100, v98
	v_mul_f32_e32 v100, 0xbf59a7d5, v128
	s_delay_alu instid0(VALU_DEP_1) | instskip(NEXT) | instid1(VALU_DEP_1)
	v_sub_f32_e32 v100, v100, v179
	v_add_f32_e32 v98, v100, v98
	v_fma_f32 v100, 0xbf59a7d5, v126, -v168
	s_wait_loadcnt 0x0
	v_add_f32_e32 v131, v64, v131
	scratch_load_b32 v64, off, off offset:24 th:TH_LOAD_LU ; 4-byte Folded Reload
	v_add_f32_e32 v93, v131, v93
	v_mul_f32_e32 v131, 0x3ee437d1, v129
	s_wait_loadcnt 0x0
	s_delay_alu instid0(VALU_DEP_1) | instskip(SKIP_4) | instid1(VALU_DEP_1)
	v_add_f32_e32 v131, v64, v131
	scratch_load_b32 v64, off, off offset:20 th:TH_LOAD_LU ; 4-byte Folded Reload
	v_add_f32_e32 v93, v131, v93
	v_add_f32_e32 v131, v139, v150
	v_mul_f32_e32 v139, 0xbe8c1d8e, v63
	v_sub_f32_e32 v139, v139, v211
	s_delay_alu instid0(VALU_DEP_1) | instskip(SKIP_1) | instid1(VALU_DEP_1)
	v_add_f32_e32 v131, v139, v131
	v_mul_f32_e32 v139, 0x3f6eb680, v125
	v_sub_f32_e32 v139, v139, v214
	s_delay_alu instid0(VALU_DEP_1) | instskip(SKIP_1) | instid1(VALU_DEP_1)
	;; [unrolled: 4-line block ×4, first 2 shown]
	v_add_f32_e32 v131, v139, v131
	v_mul_f32_e32 v139, 0xbf1a4643, v135
	v_sub_f32_e32 v139, v139, v217
	s_delay_alu instid0(VALU_DEP_1) | instskip(SKIP_2) | instid1(VALU_DEP_1)
	v_add_f32_e32 v131, v139, v131
	v_mul_f32_e32 v139, 0x3f3d2fb0, v140
	s_wait_loadcnt 0x0
	v_dual_sub_f32 v139, v139, v218 :: v_dual_add_f32 v144, v64, v144
	scratch_load_b32 v64, off, off offset:12 th:TH_LOAD_LU ; 4-byte Folded Reload
	v_dual_add_f32 v93, v144, v93 :: v_dual_mul_f32 v144, 0xbf1a4643, v136
	s_wait_loadcnt 0x0
	s_delay_alu instid0(VALU_DEP_1) | instskip(SKIP_3) | instid1(VALU_DEP_1)
	v_add_f32_e32 v144, v64, v144
	scratch_load_b32 v64, off, off offset:68 th:TH_LOAD_LU ; 4-byte Folded Reload
	v_add_f32_e32 v93, v144, v93
	v_mul_f32_e32 v144, 0x3f3d2fb0, v141
	v_add_f32_e32 v144, v219, v144
	s_delay_alu instid0(VALU_DEP_1) | instskip(SKIP_3) | instid1(VALU_DEP_3)
	v_add_f32_e32 v145, v144, v93
	v_dual_mul_f32 v93, 0xbf1a4643, v124 :: v_dual_add_f32 v144, v139, v131
	v_mul_f32_e32 v131, 0xbf7ba420, v126
	v_mul_f32_e32 v139, 0xbf1a4643, v62
	v_add_f32_e32 v93, v207, v93
	s_delay_alu instid0(VALU_DEP_3) | instskip(NEXT) | instid1(VALU_DEP_3)
	v_add_f32_e32 v131, v208, v131
	v_sub_f32_e32 v139, v139, v202
	s_delay_alu instid0(VALU_DEP_3) | instskip(NEXT) | instid1(VALU_DEP_2)
	v_add_f32_e32 v93, v93, v151
	v_add_f32_e32 v139, v139, v152
	s_delay_alu instid0(VALU_DEP_2) | instskip(SKIP_1) | instid1(VALU_DEP_3)
	v_add_f32_e32 v93, v131, v93
	v_mul_f32_e32 v131, 0xbe8c1d8e, v127
	v_dual_add_f32 v139, v146, v139 :: v_dual_mul_f32 v146, 0xbe8c1d8e, v125
	s_delay_alu instid0(VALU_DEP_1) | instskip(NEXT) | instid1(VALU_DEP_1)
	v_dual_add_f32 v131, v209, v131 :: v_dual_sub_f32 v146, v146, v200
	v_add_f32_e32 v93, v131, v93
	v_mul_f32_e32 v131, 0x3f3d2fb0, v129
	s_delay_alu instid0(VALU_DEP_1) | instskip(NEXT) | instid1(VALU_DEP_1)
	v_add_f32_e32 v131, v206, v131
	v_add_f32_e32 v93, v131, v93
	v_mul_f32_e32 v131, 0x3f6eb680, v132
	s_delay_alu instid0(VALU_DEP_1) | instskip(NEXT) | instid1(VALU_DEP_1)
	v_add_f32_e32 v131, v205, v131
	v_add_f32_e32 v93, v131, v93
	v_dual_add_f32 v131, v146, v139 :: v_dual_mul_f32 v146, 0x3dbcf732, v136
	s_delay_alu instid0(VALU_DEP_1) | instskip(NEXT) | instid1(VALU_DEP_1)
	v_dual_mul_f32 v139, 0x3f3d2fb0, v128 :: v_dual_add_f32 v146, v204, v146
	v_sub_f32_e32 v139, v139, v199
	s_delay_alu instid0(VALU_DEP_2) | instskip(NEXT) | instid1(VALU_DEP_2)
	v_add_f32_e32 v93, v146, v93
	v_dual_mul_f32 v146, 0xbf59a7d5, v141 :: v_dual_add_f32 v131, v139, v131
	v_mul_f32_e32 v139, 0x3f6eb680, v130
	s_delay_alu instid0(VALU_DEP_2) | instskip(NEXT) | instid1(VALU_DEP_2)
	v_add_f32_e32 v146, v203, v146
	v_sub_f32_e32 v139, v139, v198
	s_delay_alu instid0(VALU_DEP_2) | instskip(SKIP_1) | instid1(VALU_DEP_3)
	v_dual_add_f32 v149, v146, v93 :: v_dual_mul_f32 v146, 0x3ee437d1, v63
	v_mul_f32_e32 v63, 0xbe8c1d8e, v130
	v_add_f32_e32 v131, v139, v131
	v_mul_f32_e32 v139, 0x3dbcf732, v135
	s_delay_alu instid0(VALU_DEP_4) | instskip(NEXT) | instid1(VALU_DEP_2)
	v_dual_mul_f32 v93, 0x3f3d2fb0, v124 :: v_dual_sub_f32 v146, v146, v157
	v_sub_f32_e32 v139, v139, v193
	s_delay_alu instid0(VALU_DEP_2) | instskip(NEXT) | instid1(VALU_DEP_2)
	v_add_f32_e32 v93, v158, v93
	v_add_f32_e32 v131, v139, v131
	v_mul_f32_e32 v139, 0xbf59a7d5, v140
	s_delay_alu instid0(VALU_DEP_3) | instskip(NEXT) | instid1(VALU_DEP_2)
	v_add_f32_e32 v93, v93, v147
	v_sub_f32_e32 v139, v139, v192
	s_delay_alu instid0(VALU_DEP_1) | instskip(SKIP_1) | instid1(VALU_DEP_2)
	v_dual_add_f32 v148, v139, v131 :: v_dual_mul_f32 v139, 0x3ee437d1, v126
	v_mul_f32_e32 v131, 0x3f3d2fb0, v62
	v_dual_mul_f32 v62, 0xbe8c1d8e, v132 :: v_dual_add_f32 v139, v155, v139
	s_delay_alu instid0(VALU_DEP_2) | instskip(NEXT) | instid1(VALU_DEP_2)
	v_sub_f32_e32 v131, v131, v156
	v_add_f32_e32 v62, v167, v62
	s_delay_alu instid0(VALU_DEP_3) | instskip(SKIP_1) | instid1(VALU_DEP_4)
	v_add_f32_e32 v93, v139, v93
	v_mul_f32_e32 v139, 0x3dbcf732, v127
	v_add_f32_e32 v131, v131, v184
	s_delay_alu instid0(VALU_DEP_2) | instskip(NEXT) | instid1(VALU_DEP_2)
	v_add_f32_e32 v139, v161, v139
	v_dual_add_f32 v131, v146, v131 :: v_dual_mul_f32 v146, 0x3dbcf732, v125
	s_delay_alu instid0(VALU_DEP_2) | instskip(SKIP_1) | instid1(VALU_DEP_1)
	v_add_f32_e32 v93, v139, v93
	v_mul_f32_e32 v139, 0xbe8c1d8e, v129
	v_dual_sub_f32 v146, v146, v153 :: v_dual_add_f32 v139, v164, v139
	s_delay_alu instid0(VALU_DEP_1) | instskip(NEXT) | instid1(VALU_DEP_2)
	v_dual_add_f32 v131, v146, v131 :: v_dual_mul_f32 v146, 0xbe8c1d8e, v128
	v_add_f32_e32 v93, v139, v93
	s_delay_alu instid0(VALU_DEP_2) | instskip(NEXT) | instid1(VALU_DEP_1)
	v_dual_mul_f32 v139, 0xbf1a4643, v132 :: v_dual_sub_f32 v146, v146, v162
	v_add_f32_e32 v139, v166, v139
	s_delay_alu instid0(VALU_DEP_2) | instskip(NEXT) | instid1(VALU_DEP_2)
	v_dual_add_f32 v131, v146, v131 :: v_dual_mul_f32 v146, 0xbf1a4643, v130
	v_add_f32_e32 v93, v139, v93
	v_mul_f32_e32 v139, 0xbf59a7d5, v136
	s_delay_alu instid0(VALU_DEP_1) | instskip(NEXT) | instid1(VALU_DEP_1)
	v_dual_sub_f32 v146, v146, v68 :: v_dual_add_f32 v139, v188, v139
	v_add_f32_e32 v131, v146, v131
	s_delay_alu instid0(VALU_DEP_2) | instskip(NEXT) | instid1(VALU_DEP_1)
	v_dual_mul_f32 v146, 0xbf59a7d5, v135 :: v_dual_add_f32 v93, v139, v93
	v_dual_mul_f32 v139, 0xbf7ba420, v141 :: v_dual_sub_f32 v146, v146, v187
	s_delay_alu instid0(VALU_DEP_1) | instskip(NEXT) | instid1(VALU_DEP_2)
	v_add_f32_e32 v139, v191, v139
	v_dual_add_f32 v131, v146, v131 :: v_dual_mul_f32 v146, 0xbf7ba420, v140
	s_delay_alu instid0(VALU_DEP_2) | instskip(SKIP_2) | instid1(VALU_DEP_2)
	v_add_f32_e32 v147, v139, v93
	v_add_f32_e32 v93, v195, v99
	v_mul_f32_e32 v99, 0xbf1a4643, v126
	v_dual_sub_f32 v146, v146, v190 :: v_dual_add_f32 v93, v93, v101
	s_delay_alu instid0(VALU_DEP_2) | instskip(SKIP_1) | instid1(VALU_DEP_3)
	v_add_f32_e32 v99, v182, v99
	v_add_f32_e32 v101, v154, v163
	;; [unrolled: 1-line block ×3, first 2 shown]
	s_delay_alu instid0(VALU_DEP_4) | instskip(NEXT) | instid1(VALU_DEP_4)
	v_add_f32_e32 v93, v93, v103
	v_add_f32_e32 v67, v99, v67
	v_mul_f32_e32 v99, 0xbf7ba420, v127
	s_delay_alu instid0(VALU_DEP_3) | instskip(NEXT) | instid1(VALU_DEP_2)
	v_add_f32_e32 v93, v93, v105
	v_add_f32_e32 v99, v221, v99
	s_delay_alu instid0(VALU_DEP_2) | instskip(NEXT) | instid1(VALU_DEP_2)
	v_add_f32_e32 v93, v93, v107
	v_add_f32_e32 v67, v99, v67
	v_mul_f32_e32 v99, 0xbf59a7d5, v129
	s_delay_alu instid0(VALU_DEP_3) | instskip(NEXT) | instid1(VALU_DEP_2)
	v_add_f32_e32 v93, v93, v109
	v_add_f32_e32 v99, v185, v99
	s_delay_alu instid0(VALU_DEP_2) | instskip(NEXT) | instid1(VALU_DEP_2)
	v_add_f32_e32 v93, v93, v111
	v_add_f32_e32 v67, v99, v67
	v_fma_f32 v99, 0x3f6eb680, v124, -v170
	s_delay_alu instid0(VALU_DEP_3) | instskip(NEXT) | instid1(VALU_DEP_3)
	v_add_f32_e32 v93, v93, v119
	v_add_f32_e32 v62, v62, v67
	s_delay_alu instid0(VALU_DEP_3) | instskip(NEXT) | instid1(VALU_DEP_3)
	v_add_f32_e32 v99, v99, v171
	v_add_f32_e32 v93, v93, v121
	s_delay_alu instid0(VALU_DEP_2) | instskip(SKIP_2) | instid1(VALU_DEP_4)
	v_add_f32_e32 v67, v100, v99
	v_fma_f32 v99, 0x3f3d2fb0, v127, -v173
	v_dual_add_f32 v100, v169, v101 :: v_dual_mul_f32 v101, 0x3ee437d1, v136
	v_add_f32_e32 v93, v93, v120
	s_delay_alu instid0(VALU_DEP_3) | instskip(NEXT) | instid1(VALU_DEP_3)
	v_add_f32_e32 v67, v99, v67
	v_dual_add_f32 v99, v172, v100 :: v_dual_mul_f32 v100, 0x3ee437d1, v135
	s_delay_alu instid0(VALU_DEP_4) | instskip(NEXT) | instid1(VALU_DEP_4)
	v_add_f32_e32 v101, v165, v101
	v_add_f32_e32 v93, v93, v115
	s_delay_alu instid0(VALU_DEP_2) | instskip(NEXT) | instid1(VALU_DEP_2)
	v_add_f32_e32 v101, v101, v62
	v_add_f32_e32 v93, v93, v123
	s_delay_alu instid0(VALU_DEP_1) | instskip(NEXT) | instid1(VALU_DEP_1)
	v_add_f32_e32 v93, v93, v122
	v_add_f32_e32 v93, v93, v118
	s_wait_loadcnt 0x0
	v_sub_f32_e32 v63, v63, v64
	scratch_load_b32 v64, off, off offset:72 th:TH_LOAD_LU ; 4-byte Folded Reload
	v_add_f32_e32 v63, v63, v98
	v_fma_f32 v98, 0xbf1a4643, v129, -v174
	s_delay_alu instid0(VALU_DEP_1) | instskip(SKIP_2) | instid1(VALU_DEP_2)
	v_add_f32_e32 v62, v98, v67
	v_fma_f32 v67, 0x3ee437d1, v132, -v181
	v_dual_add_f32 v98, v175, v99 :: v_dual_mul_f32 v99, 0x3f6eb680, v141
	v_add_f32_e32 v62, v67, v62
	s_delay_alu instid0(VALU_DEP_2) | instskip(SKIP_1) | instid1(VALU_DEP_1)
	v_dual_add_f32 v67, v186, v98 :: v_dual_mul_f32 v98, 0x3f6eb680, v140
	s_wait_loadcnt 0x0
	v_dual_add_f32 v103, v194, v67 :: v_dual_sub_f32 v100, v100, v64
	scratch_load_b32 v64, off, off offset:56 th:TH_LOAD_LU ; 4-byte Folded Reload
	v_add_f32_e32 v100, v100, v63
	v_fma_f32 v63, 0xbe8c1d8e, v136, -v189
	s_delay_alu instid0(VALU_DEP_1) | instskip(SKIP_3) | instid1(VALU_DEP_1)
	v_add_f32_e32 v102, v63, v62
	scratch_load_b32 v62, off, off offset:60 th:TH_LOAD_LU ; 4-byte Folded Reload
	v_add_f32_e32 v63, v93, v65
	v_fma_f32 v93, 0x3dbcf732, v141, -v196
	v_add_f32_e32 v67, v93, v102
	s_wait_loadcnt 0x1
	v_add_f32_e32 v99, v64, v99
	scratch_load_b32 v64, off, off offset:64 th:TH_LOAD_LU ; 4-byte Folded Reload
	s_wait_loadcnt 0x1
	v_dual_add_f32 v65, v99, v101 :: v_dual_add_f32 v62, v66, v62
	v_add_f32_e32 v66, v197, v103
	ds_store_2addr_b64 v94, v[62:63], v[146:147] offset1:50
	v_add_nc_u32_e32 v62, 0x800, v94
	s_wait_loadcnt 0x0
	v_dual_sub_f32 v98, v98, v64 :: v_dual_add_nc_u32 v63, 0xc00, v94
	s_delay_alu instid0(VALU_DEP_1)
	v_add_f32_e32 v64, v98, v100
	ds_store_2addr_b64 v94, v[64:65], v[148:149] offset0:100 offset1:150
	v_add_nc_u32_e32 v64, 0x1000, v94
	ds_store_2addr_b64 v94, v[144:145], v[142:143] offset0:200 offset1:250
	ds_store_2addr_b64 v62, v[137:138], v[133:134] offset0:44 offset1:94
	;; [unrolled: 1-line block ×6, first 2 shown]
	ds_store_b64 v94, v[89:90] offset:6400
.LBB0_5:
	s_wait_alu 0xfffe
	s_or_b32 exec_lo, exec_lo, s0
	s_add_nc_u64 s[0:1], s[8:9], 0x1a90
	global_wb scope:SCOPE_SE
	s_wait_storecnt_dscnt 0x0
	s_barrier_signal -1
	s_barrier_wait -1
	global_inv scope:SCOPE_SE
	s_clause 0x9
	global_load_b64 v[64:65], v[91:92], off offset:6800
	global_load_b64 v[66:67], v94, s[0:1] offset:680
	global_load_b64 v[107:108], v94, s[0:1] offset:1360
	;; [unrolled: 1-line block ×9, first 2 shown]
	ds_load_2addr_b64 v[60:63], v94 offset1:85
	s_wait_loadcnt_dscnt 0x900
	v_dual_mul_f32 v91, v61, v65 :: v_dual_add_nc_u32 v98, 0x800, v94
	s_wait_loadcnt 0x8
	v_dual_mul_f32 v92, v60, v65 :: v_dual_mul_f32 v93, v63, v67
	v_mul_f32_e32 v65, v62, v67
	s_delay_alu instid0(VALU_DEP_3) | instskip(NEXT) | instid1(VALU_DEP_3)
	v_fma_f32 v91, v60, v64, -v91
	v_fmac_f32_e32 v92, v61, v64
	s_delay_alu instid0(VALU_DEP_4) | instskip(NEXT) | instid1(VALU_DEP_4)
	v_fma_f32 v64, v62, v66, -v93
	v_fmac_f32_e32 v65, v63, v66
	ds_store_2addr_b64 v94, v[91:92], v[64:65] offset1:85
	ds_load_2addr_b64 v[60:63], v94 offset0:170 offset1:255
	v_add_nc_u32_e32 v92, 0xc00, v94
	v_add_nc_u32_e32 v91, 0x1000, v94
	ds_load_2addr_b64 v[64:67], v98 offset0:84 offset1:169
	s_wait_loadcnt_dscnt 0x701
	v_mul_f32_e32 v93, v61, v108
	ds_load_2addr_b64 v[99:102], v92 offset0:126 offset1:211
	ds_load_2addr_b64 v[103:106], v91 offset0:168 offset1:253
	s_wait_loadcnt 0x6
	v_dual_mul_f32 v123, v60, v108 :: v_dual_mul_f32 v124, v63, v110
	s_wait_loadcnt_dscnt 0x502
	v_dual_mul_f32 v108, v62, v110 :: v_dual_mul_f32 v125, v65, v112
	v_mul_f32_e32 v110, v64, v112
	s_wait_loadcnt 0x4
	v_mul_f32_e32 v126, v67, v114
	v_mul_f32_e32 v112, v66, v114
	v_dual_fmac_f32 v108, v63, v109 :: v_dual_fmac_f32 v123, v61, v107
	s_wait_loadcnt_dscnt 0x301
	v_dual_fmac_f32 v110, v65, v111 :: v_dual_mul_f32 v127, v100, v116
	v_mul_f32_e32 v114, v99, v116
	s_wait_loadcnt 0x2
	v_mul_f32_e32 v128, v102, v118
	s_wait_loadcnt_dscnt 0x100
	v_dual_mul_f32 v116, v101, v118 :: v_dual_mul_f32 v129, v104, v120
	v_mul_f32_e32 v118, v103, v120
	s_wait_loadcnt 0x0
	v_mul_f32_e32 v130, v106, v122
	v_mul_f32_e32 v120, v105, v122
	v_fma_f32 v122, v60, v107, -v93
	v_fma_f32 v107, v62, v109, -v124
	;; [unrolled: 1-line block ×4, first 2 shown]
	v_fmac_f32_e32 v112, v67, v113
	v_fma_f32 v113, v99, v115, -v127
	v_fmac_f32_e32 v114, v100, v115
	v_fma_f32 v115, v101, v117, -v128
	;; [unrolled: 2-line block ×4, first 2 shown]
	v_fmac_f32_e32 v120, v106, v121
	ds_store_2addr_b64 v94, v[122:123], v[107:108] offset0:170 offset1:255
	ds_store_2addr_b64 v98, v[109:110], v[111:112] offset0:84 offset1:169
	ds_store_2addr_b64 v92, v[113:114], v[115:116] offset0:126 offset1:211
	ds_store_2addr_b64 v91, v[117:118], v[119:120] offset0:168 offset1:253
	global_wb scope:SCOPE_SE
	s_wait_dscnt 0x0
	s_barrier_signal -1
	s_barrier_wait -1
	global_inv scope:SCOPE_SE
	ds_load_2addr_b64 v[60:63], v94 offset1:85
	ds_load_2addr_b64 v[64:67], v94 offset0:170 offset1:255
	ds_load_2addr_b64 v[99:102], v98 offset0:84 offset1:169
	;; [unrolled: 1-line block ×4, first 2 shown]
	global_wb scope:SCOPE_SE
	s_wait_dscnt 0x0
	s_barrier_signal -1
	s_barrier_wait -1
	global_inv scope:SCOPE_SE
	v_add_f32_e32 v93, v60, v64
	v_dual_sub_f32 v114, v64, v99 :: v_dual_sub_f32 v133, v101, v66
	v_add_f32_e32 v111, v99, v103
	v_sub_f32_e32 v115, v107, v103
	v_dual_add_f32 v116, v64, v107 :: v_dual_sub_f32 v137, v101, v105
	v_dual_add_f32 v119, v61, v65 :: v_dual_add_f32 v126, v62, v66
	v_add_f32_e32 v93, v93, v99
	v_sub_f32_e32 v112, v65, v108
	v_sub_f32_e32 v113, v100, v104
	;; [unrolled: 1-line block ×3, first 2 shown]
	v_dual_sub_f32 v118, v103, v107 :: v_dual_sub_f32 v125, v104, v108
	v_dual_add_f32 v120, v100, v104 :: v_dual_add_f32 v135, v63, v67
	v_dual_sub_f32 v121, v99, v103 :: v_dual_sub_f32 v122, v65, v100
	v_sub_f32_e32 v123, v108, v104
	v_dual_add_f32 v124, v65, v108 :: v_dual_sub_f32 v141, v106, v110
	v_sub_f32_e32 v65, v100, v65
	v_dual_add_f32 v127, v101, v105 :: v_dual_sub_f32 v128, v67, v110
	v_add_f32_e32 v99, v114, v115
	v_add_f32_e32 v136, v102, v106
	v_dual_add_f32 v140, v67, v110 :: v_dual_add_f32 v93, v93, v103
	v_add_f32_e32 v132, v66, v109
	v_fma_f32 v111, -0.5, v111, v60
	v_fma_f32 v114, -0.5, v116, v60
	v_add_f32_e32 v100, v119, v100
	v_dual_sub_f32 v64, v64, v107 :: v_dual_sub_f32 v139, v110, v106
	v_dual_sub_f32 v129, v102, v106 :: v_dual_sub_f32 v134, v105, v109
	v_dual_fmamk_f32 v103, v112, 0xbf737871, v111 :: v_dual_sub_f32 v130, v66, v101
	v_dual_sub_f32 v138, v67, v102 :: v_dual_sub_f32 v67, v102, v67
	v_add_f32_e32 v60, v117, v118
	v_fma_f32 v115, -0.5, v120, v61
	v_add_f32_e32 v116, v122, v123
	v_fma_f32 v117, -0.5, v124, v61
	v_add_f32_e32 v61, v65, v125
	v_add_f32_e32 v65, v126, v101
	v_fma_f32 v101, -0.5, v127, v62
	v_fma_f32 v120, -0.5, v136, v63
	v_fmac_f32_e32 v63, -0.5, v140
	v_fma_f32 v62, -0.5, v132, v62
	v_dual_fmamk_f32 v123, v113, 0x3f737871, v114 :: v_dual_add_f32 v100, v100, v104
	v_dual_sub_f32 v131, v109, v105 :: v_dual_add_f32 v102, v135, v102
	v_add_f32_e32 v65, v65, v105
	s_delay_alu instid0(VALU_DEP_4) | instskip(NEXT) | instid1(VALU_DEP_4)
	v_fmamk_f32 v125, v129, 0x3f737871, v62
	v_dual_fmac_f32 v103, 0xbf167918, v113 :: v_dual_add_f32 v100, v100, v108
	v_fmamk_f32 v124, v121, 0xbf737871, v117
	v_dual_sub_f32 v66, v66, v109 :: v_dual_fmac_f32 v111, 0x3f737871, v112
	v_dual_add_f32 v119, v133, v134 :: v_dual_add_f32 v118, v130, v131
	v_dual_fmac_f32 v117, 0x3f737871, v121 :: v_dual_add_f32 v122, v138, v139
	v_dual_fmamk_f32 v105, v128, 0xbf737871, v101 :: v_dual_fmac_f32 v114, 0xbf737871, v113
	v_add_f32_e32 v93, v93, v107
	v_dual_fmac_f32 v101, 0x3f737871, v128 :: v_dual_add_f32 v102, v102, v106
	v_fmamk_f32 v104, v64, 0x3f737871, v115
	v_fmac_f32_e32 v115, 0xbf737871, v64
	v_fmac_f32_e32 v123, 0xbf167918, v112
	s_delay_alu instid0(VALU_DEP_4)
	v_dual_fmac_f32 v124, 0x3f167918, v64 :: v_dual_fmac_f32 v101, 0x3f167918, v129
	v_dual_add_f32 v67, v67, v141 :: v_dual_fmamk_f32 v106, v66, 0x3f737871, v120
	v_dual_fmac_f32 v111, 0x3f167918, v113 :: v_dual_fmac_f32 v114, 0x3f167918, v112
	v_dual_fmac_f32 v117, 0xbf167918, v64 :: v_dual_add_f32 v64, v65, v109
	v_fmac_f32_e32 v115, 0xbf167918, v121
	v_fmac_f32_e32 v105, 0xbf167918, v129
	v_dual_fmac_f32 v123, 0x3e9e377a, v60 :: v_dual_fmac_f32 v124, 0x3e9e377a, v61
	v_fmamk_f32 v126, v137, 0xbf737871, v63
	v_fmac_f32_e32 v63, 0x3f737871, v137
	v_add_f32_e32 v65, v102, v110
	v_fmac_f32_e32 v120, 0xbf737871, v66
	v_dual_fmac_f32 v103, 0x3e9e377a, v99 :: v_dual_fmac_f32 v114, 0x3e9e377a, v60
	v_fmac_f32_e32 v126, 0x3f167918, v66
	v_fmac_f32_e32 v111, 0x3e9e377a, v99
	v_dual_fmac_f32 v63, 0xbf167918, v66 :: v_dual_add_f32 v60, v93, v64
	v_fmac_f32_e32 v115, 0x3e9e377a, v116
	v_fmac_f32_e32 v106, 0x3f167918, v137
	v_dual_sub_f32 v66, v93, v64 :: v_dual_fmac_f32 v105, 0x3e9e377a, v118
	v_fmac_f32_e32 v126, 0x3e9e377a, v67
	v_fmac_f32_e32 v62, 0xbf737871, v129
	s_delay_alu instid0(VALU_DEP_4) | instskip(NEXT) | instid1(VALU_DEP_3)
	v_dual_fmac_f32 v106, 0x3e9e377a, v122 :: v_dual_fmac_f32 v63, 0x3e9e377a, v67
	v_dual_sub_f32 v67, v100, v65 :: v_dual_mul_f32 v112, 0x3e9e377a, v126
	v_fmac_f32_e32 v120, 0xbf167918, v137
	v_fmac_f32_e32 v117, 0x3e9e377a, v61
	v_mul_f32_e32 v110, 0x3f167918, v105
	v_dual_mul_f32 v107, 0xbf737871, v126 :: v_dual_mul_f32 v108, 0xbf737871, v63
	s_delay_alu instid0(VALU_DEP_4) | instskip(NEXT) | instid1(VALU_DEP_3)
	v_dual_fmac_f32 v120, 0x3e9e377a, v122 :: v_dual_add_f32 v61, v100, v65
	v_fmac_f32_e32 v110, 0x3f4f1bbd, v106
	v_fmac_f32_e32 v62, 0x3f167918, v128
	s_delay_alu instid0(VALU_DEP_1) | instskip(NEXT) | instid1(VALU_DEP_1)
	v_fmac_f32_e32 v62, 0x3e9e377a, v119
	v_dual_mul_f32 v113, 0xbe9e377a, v63 :: v_dual_fmac_f32 v108, 0xbe9e377a, v62
	s_delay_alu instid0(VALU_DEP_1) | instskip(SKIP_2) | instid1(VALU_DEP_3)
	v_fmac_f32_e32 v113, 0x3f737871, v62
	v_mul_f32_e32 v93, 0xbf167918, v106
	v_fmac_f32_e32 v104, 0x3f167918, v121
	v_add_f32_e32 v102, v117, v113
	s_delay_alu instid0(VALU_DEP_3) | instskip(SKIP_1) | instid1(VALU_DEP_4)
	v_fmac_f32_e32 v93, 0x3f4f1bbd, v105
	v_fmac_f32_e32 v125, 0xbf167918, v128
	;; [unrolled: 1-line block ×3, first 2 shown]
	s_delay_alu instid0(VALU_DEP_3) | instskip(NEXT) | instid1(VALU_DEP_3)
	v_dual_mul_f32 v109, 0xbf167918, v120 :: v_dual_add_f32 v62, v103, v93
	v_fmac_f32_e32 v125, 0x3e9e377a, v119
	s_delay_alu instid0(VALU_DEP_3) | instskip(SKIP_1) | instid1(VALU_DEP_3)
	v_add_f32_e32 v63, v104, v110
	v_sub_f32_e32 v104, v104, v110
	v_fmac_f32_e32 v112, 0x3f737871, v125
	s_delay_alu instid0(VALU_DEP_1) | instskip(NEXT) | instid1(VALU_DEP_1)
	v_dual_fmac_f32 v101, 0x3e9e377a, v118 :: v_dual_add_f32 v100, v124, v112
	v_dual_mul_f32 v116, 0xbf4f1bbd, v120 :: v_dual_fmac_f32 v109, 0xbf4f1bbd, v101
	v_dual_sub_f32 v106, v124, v112 :: v_dual_sub_f32 v103, v103, v93
	s_delay_alu instid0(VALU_DEP_2) | instskip(SKIP_1) | instid1(VALU_DEP_4)
	v_fmac_f32_e32 v116, 0x3f167918, v101
	v_fmac_f32_e32 v107, 0x3e9e377a, v125
	v_dual_add_f32 v101, v114, v108 :: v_dual_add_f32 v64, v111, v109
	v_sub_f32_e32 v109, v111, v109
	s_delay_alu instid0(VALU_DEP_4) | instskip(NEXT) | instid1(VALU_DEP_4)
	v_sub_f32_e32 v110, v115, v116
	v_add_f32_e32 v99, v123, v107
	v_add_f32_e32 v65, v115, v116
	v_sub_f32_e32 v105, v123, v107
	v_dual_sub_f32 v107, v114, v108 :: v_dual_sub_f32 v108, v117, v113
	ds_store_b128 v95, v[60:63]
	ds_store_b128 v95, v[99:102] offset:16
	ds_store_b128 v95, v[64:67] offset:32
	;; [unrolled: 1-line block ×4, first 2 shown]
	global_wb scope:SCOPE_SE
	s_wait_dscnt 0x0
	s_barrier_signal -1
	s_barrier_wait -1
	global_inv scope:SCOPE_SE
	ds_load_2addr_b64 v[64:67], v94 offset0:170 offset1:255
	ds_load_2addr_b64 v[99:102], v98 offset0:84 offset1:169
	;; [unrolled: 1-line block ×4, first 2 shown]
	ds_load_2addr_b64 v[60:63], v94 offset1:85
	global_wb scope:SCOPE_SE
	s_wait_dscnt 0x0
	s_barrier_signal -1
	s_barrier_wait -1
	global_inv scope:SCOPE_SE
	v_dual_mul_f32 v93, v13, v65 :: v_dual_mul_f32 v114, v7, v102
	v_mul_f32_e32 v13, v13, v64
	v_mul_f32_e32 v95, v15, v100
	;; [unrolled: 1-line block ×3, first 2 shown]
	v_dual_mul_f32 v111, v9, v104 :: v_dual_mul_f32 v116, v3, v110
	v_dual_mul_f32 v9, v9, v103 :: v_dual_fmac_f32 v114, v6, v101
	v_mul_f32_e32 v112, v11, v108
	s_delay_alu instid0(VALU_DEP_3)
	v_dual_mul_f32 v11, v11, v107 :: v_dual_fmac_f32 v116, v2, v109
	v_fmac_f32_e32 v93, v12, v64
	v_fma_f32 v12, v12, v65, -v13
	v_fma_f32 v13, v14, v100, -v15
	v_fmac_f32_e32 v111, v8, v103
	v_fma_f32 v8, v8, v104, -v9
	v_dual_mul_f32 v7, v7, v101 :: v_dual_fmac_f32 v112, v10, v107
	v_mul_f32_e32 v113, v5, v67
	v_mul_f32_e32 v115, v1, v106
	s_delay_alu instid0(VALU_DEP_4)
	v_dual_mul_f32 v3, v3, v109 :: v_dual_sub_f32 v100, v13, v8
	v_dual_fmac_f32 v95, v14, v99 :: v_dual_add_f32 v64, v13, v8
	v_mul_f32_e32 v5, v5, v66
	v_fma_f32 v14, v10, v108, -v11
	v_mul_f32_e32 v1, v1, v105
	v_fma_f32 v15, v2, v110, -v3
	v_add_f32_e32 v2, v95, v111
	v_dual_sub_f32 v10, v111, v112 :: v_dual_fmac_f32 v113, v4, v66
	v_fma_f32 v4, v4, v67, -v5
	v_fma_f32 v5, v6, v102, -v7
	v_sub_f32_e32 v6, v112, v111
	v_fmac_f32_e32 v115, v0, v105
	v_add_f32_e32 v102, v12, v14
	v_fma_f32 v0, v0, v106, -v1
	v_add_f32_e32 v11, v61, v12
	v_dual_add_f32 v120, v63, v4 :: v_dual_sub_f32 v99, v12, v14
	v_sub_f32_e32 v118, v114, v113
	s_delay_alu instid0(VALU_DEP_4) | instskip(SKIP_4) | instid1(VALU_DEP_4)
	v_sub_f32_e32 v124, v15, v0
	v_dual_add_f32 v106, v114, v115 :: v_dual_add_f32 v7, v93, v112
	v_sub_f32_e32 v110, v116, v115
	v_dual_add_f32 v1, v60, v93 :: v_dual_sub_f32 v122, v114, v115
	v_sub_f32_e32 v103, v13, v12
	v_fma_f32 v66, -0.5, v7, v60
	v_sub_f32_e32 v109, v113, v114
	v_sub_f32_e32 v65, v12, v13
	v_fma_f32 v12, -0.5, v2, v60
	v_dual_sub_f32 v3, v93, v95 :: v_dual_sub_f32 v104, v8, v14
	v_sub_f32_e32 v67, v14, v8
	v_sub_f32_e32 v9, v95, v93
	s_delay_alu instid0(VALU_DEP_4)
	v_dual_fmamk_f32 v2, v99, 0xbf737871, v12 :: v_dual_add_f32 v1, v1, v95
	v_dual_sub_f32 v107, v4, v15 :: v_dual_sub_f32 v108, v5, v0
	v_sub_f32_e32 v123, v4, v5
	v_dual_add_f32 v105, v62, v113 :: v_dual_sub_f32 v126, v0, v15
	v_fmac_f32_e32 v12, 0x3f737871, v99
	v_dual_fmac_f32 v2, 0xbf167918, v100 :: v_dual_add_f32 v1, v1, v111
	v_dual_add_f32 v125, v4, v15 :: v_dual_sub_f32 v4, v5, v4
	v_dual_sub_f32 v101, v95, v111 :: v_dual_add_f32 v60, v9, v10
	s_delay_alu instid0(VALU_DEP_4)
	v_dual_add_f32 v95, v3, v6 :: v_dual_fmac_f32 v12, 0x3f167918, v100
	v_add_f32_e32 v3, v11, v13
	v_fma_f32 v13, -0.5, v64, v61
	v_fma_f32 v6, -0.5, v106, v62
	v_fmamk_f32 v64, v100, 0x3f737871, v66
	v_fmac_f32_e32 v66, 0xbf737871, v100
	v_add_f32_e32 v117, v113, v116
	v_add_f32_e32 v127, v65, v67
	v_fma_f32 v67, -0.5, v102, v61
	s_delay_alu instid0(VALU_DEP_4)
	v_dual_add_f32 v61, v103, v104 :: v_dual_fmac_f32 v66, 0x3f167918, v99
	v_dual_add_f32 v104, v123, v124 :: v_dual_add_f32 v9, v105, v114
	v_dual_fmac_f32 v64, 0xbf167918, v99 :: v_dual_add_f32 v105, v3, v8
	v_fmac_f32_e32 v2, 0x3e9e377a, v95
	v_fmamk_f32 v8, v107, 0xbf737871, v6
	v_fma_f32 v62, -0.5, v117, v62
	v_dual_add_f32 v121, v5, v0 :: v_dual_fmac_f32 v6, 0x3f737871, v107
	v_sub_f32_e32 v113, v113, v116
	v_dual_sub_f32 v93, v93, v112 :: v_dual_add_f32 v4, v4, v126
	s_delay_alu instid0(VALU_DEP_4) | instskip(SKIP_4) | instid1(VALU_DEP_4)
	v_fmamk_f32 v10, v108, 0x3f737871, v62
	v_add_f32_e32 v5, v120, v5
	v_fma_f32 v7, -0.5, v121, v63
	v_fmac_f32_e32 v62, 0xbf737871, v108
	v_fmac_f32_e32 v64, 0x3e9e377a, v60
	v_dual_fmac_f32 v10, 0xbf167918, v107 :: v_dual_add_f32 v5, v5, v0
	v_fmac_f32_e32 v12, 0x3e9e377a, v95
	v_dual_add_f32 v0, v1, v112 :: v_dual_fmac_f32 v63, -0.5, v125
	v_fmac_f32_e32 v62, 0x3f167918, v107
	v_fmamk_f32 v3, v93, 0x3f737871, v13
	v_fmac_f32_e32 v13, 0xbf737871, v93
	v_fmamk_f32 v65, v101, 0xbf737871, v67
	;; [unrolled: 2-line block ×3, first 2 shown]
	v_fmac_f32_e32 v63, 0x3f737871, v122
	v_fmac_f32_e32 v8, 0xbf167918, v108
	v_dual_sub_f32 v119, v115, v116 :: v_dual_add_f32 v106, v9, v115
	v_fmamk_f32 v9, v113, 0x3f737871, v7
	v_dual_fmac_f32 v7, 0xbf737871, v113 :: v_dual_add_f32 v102, v109, v110
	s_delay_alu instid0(VALU_DEP_3)
	v_dual_add_f32 v103, v118, v119 :: v_dual_fmac_f32 v6, 0x3f167918, v108
	v_fmac_f32_e32 v3, 0x3f167918, v101
	v_fmac_f32_e32 v13, 0xbf167918, v101
	;; [unrolled: 1-line block ×8, first 2 shown]
	v_dual_add_f32 v1, v105, v14 :: v_dual_fmac_f32 v66, 0x3e9e377a, v60
	v_dual_add_f32 v14, v106, v116 :: v_dual_add_f32 v15, v5, v15
	v_dual_fmac_f32 v8, 0x3e9e377a, v102 :: v_dual_fmac_f32 v3, 0x3e9e377a, v127
	v_dual_fmac_f32 v6, 0x3e9e377a, v102 :: v_dual_fmac_f32 v13, 0x3e9e377a, v127
	;; [unrolled: 1-line block ×4, first 2 shown]
	v_fmac_f32_e32 v9, 0x3e9e377a, v104
	v_fmac_f32_e32 v7, 0x3e9e377a, v104
	;; [unrolled: 1-line block ×4, first 2 shown]
	ds_store_2addr_b64 v97, v[0:1], v[2:3] offset1:10
	ds_store_2addr_b64 v97, v[64:65], v[66:67] offset0:20 offset1:30
	ds_store_b64 v97, v[12:13] offset:320
	ds_store_2addr_b64 v96, v[14:15], v[8:9] offset1:10
	ds_store_2addr_b64 v96, v[10:11], v[62:63] offset0:20 offset1:30
	ds_store_b64 v96, v[6:7] offset:320
	global_wb scope:SCOPE_SE
	s_wait_dscnt 0x0
	s_barrier_signal -1
	s_barrier_wait -1
	global_inv scope:SCOPE_SE
	s_and_saveexec_b32 s0, vcc_lo
	s_cbranch_execz .LBB0_7
; %bb.6:
	ds_load_2addr_b64 v[0:3], v94 offset1:50
	ds_load_2addr_b64 v[64:67], v94 offset0:100 offset1:150
	ds_load_2addr_b64 v[4:7], v98 offset0:144 offset1:194
	ds_load_2addr_b64 v[12:15], v94 offset0:200 offset1:250
	ds_load_2addr_b64 v[8:11], v98 offset0:44 offset1:94
	ds_load_2addr_b64 v[56:59], v92 offset0:116 offset1:166
	ds_load_2addr_b64 v[52:55], v91 offset0:88 offset1:138
	ds_load_2addr_b64 v[48:51], v91 offset0:188 offset1:238
	ds_load_b64 v[89:90], v94 offset:6400
	s_wait_dscnt 0x6
	v_dual_mov_b32 v62, v4 :: v_dual_mov_b32 v63, v5
.LBB0_7:
	s_wait_alu 0xfffe
	s_or_b32 exec_lo, exec_lo, s0
	s_and_saveexec_b32 s0, vcc_lo
	s_cbranch_execz .LBB0_9
; %bb.8:
	s_wait_dscnt 0x0
	v_dual_mul_f32 v4, v47, v89 :: v_dual_mul_f32 v5, v25, v2
	v_mul_f32_e32 v61, v25, v3
	v_mul_f32_e32 v47, v47, v90
	;; [unrolled: 1-line block ×3, first 2 shown]
	s_delay_alu instid0(VALU_DEP_4) | instskip(SKIP_3) | instid1(VALU_DEP_3)
	v_fma_f32 v60, v46, v90, -v4
	v_fma_f32 v90, v24, v3, -v5
	v_dual_mul_f32 v3, v45, v50 :: v_dual_mul_f32 v4, v27, v64
	v_fmac_f32_e32 v47, v46, v89
	v_dual_mul_f32 v45, v45, v51 :: v_dual_add_f32 v104, v60, v90
	s_delay_alu instid0(VALU_DEP_3) | instskip(NEXT) | instid1(VALU_DEP_4)
	v_fma_f32 v46, v44, v51, -v3
	v_fma_f32 v89, v26, v65, -v4
	v_dual_mul_f32 v65, v27, v65 :: v_dual_mul_f32 v4, v33, v66
	v_mul_f32_e32 v3, v43, v48
	v_mul_f32_e32 v43, v43, v49
	s_delay_alu instid0(VALU_DEP_4) | instskip(NEXT) | instid1(VALU_DEP_4)
	v_add_f32_e32 v109, v46, v89
	v_fmac_f32_e32 v65, v26, v64
	v_fma_f32 v91, v32, v67, -v4
	s_delay_alu instid0(VALU_DEP_4) | instskip(SKIP_2) | instid1(VALU_DEP_3)
	v_dual_mul_f32 v64, v33, v67 :: v_dual_fmac_f32 v43, v42, v48
	v_mul_f32_e32 v48, v35, v13
	v_dual_mul_f32 v4, v35, v12 :: v_dual_fmac_f32 v45, v44, v50
	v_dual_fmac_f32 v64, v32, v66 :: v_dual_mul_f32 v35, v41, v55
	s_delay_alu instid0(VALU_DEP_3) | instskip(NEXT) | instid1(VALU_DEP_3)
	v_dual_fmac_f32 v48, v34, v12 :: v_dual_fmac_f32 v61, v24, v2
	v_sub_f32_e32 v24, v65, v45
	s_delay_alu instid0(VALU_DEP_3) | instskip(SKIP_4) | instid1(VALU_DEP_4)
	v_sub_f32_e32 v26, v64, v43
	v_fma_f32 v44, v42, v49, -v3
	v_mul_f32_e32 v3, v41, v54
	v_sub_f32_e32 v25, v61, v47
	v_fma_f32 v49, v34, v13, -v4
	v_dual_mul_f32 v4, v39, v52 :: v_dual_add_f32 v129, v44, v91
	v_mul_f32_e32 v51, 0xbf7ba420, v104
	v_fma_f32 v42, v40, v55, -v3
	v_fmac_f32_e32 v35, v40, v54
	s_delay_alu instid0(VALU_DEP_4)
	v_fma_f32 v40, v38, v53, -v4
	v_mul_f32_e32 v39, v39, v53
	v_mul_f32_e32 v53, v37, v59
	v_fmamk_f32 v2, v25, 0x3e3c28d5, v51
	v_mul_f32_e32 v50, 0x3f6eb680, v109
	v_dual_mul_f32 v41, 0xbf59a7d5, v129 :: v_dual_mul_f32 v4, v31, v8
	s_delay_alu instid0(VALU_DEP_4) | instskip(NEXT) | instid1(VALU_DEP_2)
	v_dual_fmac_f32 v53, v36, v58 :: v_dual_sub_f32 v172, v91, v44
	v_dual_add_f32 v2, v1, v2 :: v_dual_fmamk_f32 v3, v26, 0x3f06c442, v41
	v_sub_f32_e32 v27, v48, v35
	v_mul_f32_e32 v55, v29, v15
	v_fma_f32 v92, v30, v9, -v4
	v_dual_mul_f32 v4, v17, v10 :: v_dual_fmamk_f32 v5, v24, 0xbeb8f4ab, v50
	v_mul_f32_e32 v97, 0xbf06c442, v172
	v_mul_f32_e32 v17, v17, v11
	v_sub_f32_e32 v173, v49, v42
	s_delay_alu instid0(VALU_DEP_4) | instskip(SKIP_2) | instid1(VALU_DEP_4)
	v_fma_f32 v105, v16, v11, -v4
	v_add_f32_e32 v2, v5, v2
	v_dual_mul_f32 v5, v29, v14 :: v_dual_fmac_f32 v96, v22, v56
	v_dual_fmac_f32 v17, v16, v10 :: v_dual_mul_f32 v100, 0x3f2c7751, v173
	v_fmac_f32_e32 v55, v28, v14
	v_mul_f32_e32 v4, v21, v6
	v_sub_f32_e32 v14, v90, v60
	v_fmac_f32_e32 v39, v38, v52
	v_add_f32_e32 v139, v42, v49
	v_fma_f32 v66, v28, v15, -v5
	v_dual_add_f32 v2, v3, v2 :: v_dual_mul_f32 v157, v21, v7
	v_add_f32_e32 v32, v96, v17
	v_sub_f32_e32 v28, v55, v39
	v_mul_f32_e32 v34, 0x3f3d2fb0, v139
	v_add_f32_e32 v164, v40, v66
	v_dual_mul_f32 v156, v19, v63 :: v_dual_fmac_f32 v157, v20, v6
	v_fma_f32 v16, v20, v7, -v4
	s_delay_alu instid0(VALU_DEP_4) | instskip(SKIP_3) | instid1(VALU_DEP_4)
	v_fmamk_f32 v3, v27, 0xbf2c7751, v34
	v_mul_f32_e32 v107, 0xbf59a7d5, v104
	v_sub_f32_e32 v167, v89, v46
	v_mul_f32_e32 v117, 0xbf06c442, v14
	v_dual_mul_f32 v99, 0xbf1a4643, v139 :: v_dual_add_f32 v2, v3, v2
	v_mul_f32_e32 v3, v37, v58
	v_mul_f32_e32 v37, 0xbf1a4643, v164
	;; [unrolled: 1-line block ×5, first 2 shown]
	v_fma_f32 v54, v36, v59, -v3
	v_fmamk_f32 v5, v28, 0x3f4c4adb, v37
	v_mul_f32_e32 v119, 0xbf7ee86f, v172
	v_mul_f32_e32 v188, 0x3e3c28d5, v172
	v_dual_mul_f32 v112, 0xbf59a7d5, v139 :: v_dual_mul_f32 v149, 0xbf59a7d5, v109
	s_delay_alu instid0(VALU_DEP_4)
	v_add_f32_e32 v2, v5, v2
	v_mul_f32_e32 v5, v19, v62
	v_fmac_f32_e32 v156, v18, v62
	v_sub_f32_e32 v179, v92, v54
	v_mul_f32_e32 v159, 0x3f3d2fb0, v164
	v_mul_f32_e32 v133, 0xbf7ba420, v164
	v_fma_f32 v136, v18, v63, -v5
	v_fmamk_f32 v5, v25, 0x3f06c442, v107
	v_mul_f32_e32 v120, 0xbf1a4643, v104
	v_mul_f32_e32 v103, 0x3f65296c, v179
	;; [unrolled: 1-line block ×3, first 2 shown]
	v_add_f32_e32 v147, v16, v136
	v_mul_f32_e32 v67, v31, v9
	v_add_f32_e32 v31, v43, v64
	v_add_f32_e32 v5, v1, v5
	v_mul_f32_e32 v186, 0xbf7ba420, v129
	s_delay_alu instid0(VALU_DEP_4)
	v_dual_mul_f32 v52, 0x3dbcf732, v147 :: v_dual_fmac_f32 v67, v30, v8
	v_add_f32_e32 v30, v45, v65
	v_fmamk_f32 v8, v24, 0xbf65296c, v108
	v_mul_f32_e32 v59, 0x3eb8f4ab, v167
	v_mul_f32_e32 v3, v23, v56
	v_dual_sub_f32 v29, v67, v53 :: v_dual_mul_f32 v56, 0x3f6eb680, v164
	v_sub_f32_e32 v18, v156, v157
	v_add_f32_e32 v23, v47, v61
	s_delay_alu instid0(VALU_DEP_4) | instskip(SKIP_4) | instid1(VALU_DEP_4)
	v_fma_f32 v95, v22, v57, -v3
	v_sub_f32_e32 v174, v66, v40
	v_sub_f32_e32 v22, v17, v96
	v_fmamk_f32 v6, v18, 0xbf7ee86f, v52
	v_dual_add_f32 v171, v54, v92 :: v_dual_fmamk_f32 v4, v23, 0xbf7ba420, v58
	v_dual_add_f32 v20, v39, v55 :: v_dual_mul_f32 v93, 0xbf4c4adb, v174
	v_sub_f32_e32 v192, v136, v16
	s_delay_alu instid0(VALU_DEP_3) | instskip(SKIP_2) | instid1(VALU_DEP_3)
	v_dual_mul_f32 v36, 0x3ee437d1, v171 :: v_dual_add_f32 v123, v95, v105
	v_dual_sub_f32 v193, v105, v95 :: v_dual_mul_f32 v130, 0x3f4c4adb, v173
	v_fmamk_f32 v177, v31, 0xbf7ba420, v188
	v_fmamk_f32 v3, v29, 0xbf65296c, v36
	s_delay_alu instid0(VALU_DEP_4) | instskip(SKIP_3) | instid1(VALU_DEP_4)
	v_mul_f32_e32 v38, 0xbe8c1d8e, v123
	v_mul_f32_e32 v98, 0x3dbcf732, v129
	;; [unrolled: 1-line block ×3, first 2 shown]
	v_add_f32_e32 v19, v35, v48
	v_dual_add_f32 v2, v3, v2 :: v_dual_fmamk_f32 v3, v22, 0x3f763a35, v38
	v_mul_f32_e32 v170, 0x3f2c7751, v172
	v_mul_f32_e32 v131, 0xbeb8f4ab, v174
	;; [unrolled: 1-line block ×3, first 2 shown]
	s_delay_alu instid0(VALU_DEP_4) | instskip(SKIP_4) | instid1(VALU_DEP_4)
	v_dual_mul_f32 v63, 0xbe8c1d8e, v147 :: v_dual_add_f32 v2, v3, v2
	v_dual_add_f32 v3, v0, v4 :: v_dual_fmamk_f32 v4, v30, 0x3f6eb680, v59
	v_dual_add_f32 v21, v53, v67 :: v_dual_mul_f32 v102, 0x3f7ee86f, v192
	v_fmamk_f32 v12, v31, 0x3f3d2fb0, v170
	v_mul_f32_e32 v115, 0xbf763a35, v192
	v_dual_add_f32 v3, v4, v3 :: v_dual_fmamk_f32 v4, v31, 0xbf59a7d5, v97
	s_delay_alu instid0(VALU_DEP_4)
	v_fmamk_f32 v7, v21, 0x3ee437d1, v103
	v_mul_f32_e32 v141, 0xbf59a7d5, v171
	v_mul_f32_e32 v111, 0x3ee437d1, v147
	v_dual_mul_f32 v116, 0x3dbcf732, v171 :: v_dual_mul_f32 v165, 0x3dbcf732, v104
	v_dual_add_f32 v3, v4, v3 :: v_dual_fmamk_f32 v4, v19, 0x3f3d2fb0, v100
	v_dual_add_f32 v33, v157, v156 :: v_dual_mul_f32 v118, 0x3f65296c, v167
	v_mul_f32_e32 v169, 0x3f06c442, v167
	v_mul_f32_e32 v163, 0xbf4c4adb, v192
	s_delay_alu instid0(VALU_DEP_4)
	v_add_f32_e32 v3, v4, v3
	v_fmamk_f32 v4, v20, 0xbf1a4643, v93
	v_mul_f32_e32 v62, 0x3f3d2fb0, v123
	v_fmamk_f32 v11, v30, 0xbf59a7d5, v169
	v_mul_f32_e32 v126, 0xbf1a4643, v147
	v_dual_mul_f32 v146, 0xbf1a4643, v123 :: v_dual_mul_f32 v185, 0xbf1a4643, v109
	v_dual_add_f32 v4, v4, v3 :: v_dual_add_f32 v3, v6, v2
	v_dual_fmamk_f32 v6, v32, 0xbe8c1d8e, v101 :: v_dual_mul_f32 v161, 0xbe8c1d8e, v139
	v_mul_f32_e32 v168, 0xbf763a35, v14
	s_delay_alu instid0(VALU_DEP_3) | instskip(SKIP_3) | instid1(VALU_DEP_4)
	v_add_f32_e32 v2, v7, v4
	v_dual_add_f32 v4, v8, v5 :: v_dual_fmamk_f32 v7, v30, 0x3ee437d1, v118
	v_mul_f32_e32 v160, 0x3dbcf732, v123
	v_dual_mul_f32 v208, 0xbf7ba420, v139 :: v_dual_add_f32 v61, v0, v61
	v_add_f32_e32 v2, v6, v2
	v_fmamk_f32 v6, v33, 0x3dbcf732, v102
	v_mul_f32_e32 v210, 0xbe8c1d8e, v171
	v_dual_add_f32 v90, v90, v1 :: v_dual_mul_f32 v151, 0x3f6eb680, v139
	s_delay_alu instid0(VALU_DEP_3) | instskip(SKIP_1) | instid1(VALU_DEP_4)
	v_dual_add_f32 v65, v65, v61 :: v_dual_add_f32 v2, v6, v2
	v_fmamk_f32 v6, v23, 0xbf59a7d5, v117
	v_fmamk_f32 v195, v29, 0xbf763a35, v210
	s_delay_alu instid0(VALU_DEP_4) | instskip(SKIP_1) | instid1(VALU_DEP_4)
	v_dual_add_f32 v89, v89, v90 :: v_dual_mul_f32 v200, 0xbf06c442, v192
	v_mul_f32_e32 v206, 0x3dbcf732, v109
	v_dual_add_f32 v6, v0, v6 :: v_dual_fmamk_f32 v5, v26, 0x3f7ee86f, v98
	s_delay_alu instid0(VALU_DEP_3) | instskip(SKIP_1) | instid1(VALU_DEP_3)
	v_dual_mul_f32 v110, 0xbf7ba420, v123 :: v_dual_add_f32 v89, v91, v89
	v_mul_f32_e32 v212, 0x3ee437d1, v123
	v_add_f32_e32 v6, v7, v6
	s_delay_alu instid0(VALU_DEP_4) | instskip(SKIP_3) | instid1(VALU_DEP_4)
	v_dual_add_f32 v4, v5, v4 :: v_dual_fmamk_f32 v5, v27, 0xbf4c4adb, v99
	v_fmamk_f32 v7, v31, 0x3dbcf732, v119
	v_mul_f32_e32 v124, 0x3f3d2fb0, v129
	v_dual_add_f32 v49, v49, v89 :: v_dual_mul_f32 v148, 0xbe8c1d8e, v104
	v_dual_add_f32 v4, v5, v4 :: v_dual_fmamk_f32 v5, v28, 0x3eb8f4ab, v56
	s_delay_alu instid0(VALU_DEP_4)
	v_add_f32_e32 v6, v7, v6
	v_fmamk_f32 v7, v19, 0xbf1a4643, v130
	v_mul_f32_e32 v57, 0xbf7ba420, v171
	v_mul_f32_e32 v134, 0xbf2c7751, v179
	v_mul_f32_e32 v106, 0x3f3d2fb0, v171
	v_add_f32_e32 v4, v5, v4
	v_dual_add_f32 v6, v7, v6 :: v_dual_fmamk_f32 v7, v20, 0x3f6eb680, v131
	v_fmamk_f32 v5, v29, 0x3e3c28d5, v57
	s_delay_alu instid0(VALU_DEP_4) | instskip(SKIP_1) | instid1(VALU_DEP_4)
	v_dual_mul_f32 v114, 0x3f2c7751, v193 :: v_dual_fmamk_f32 v9, v29, 0x3f2c7751, v106
	v_mul_f32_e32 v132, 0xbe3c28d5, v179
	v_add_f32_e32 v6, v7, v6
	s_delay_alu instid0(VALU_DEP_4)
	v_add_f32_e32 v4, v5, v4
	v_fmamk_f32 v13, v29, 0x3f06c442, v141
	v_dual_fmamk_f32 v10, v24, 0xbf06c442, v149 :: v_dual_mul_f32 v191, 0xbf06c442, v179
	v_fmamk_f32 v7, v21, 0xbf7ba420, v132
	v_fmamk_f32 v5, v22, 0xbf2c7751, v62
	v_mul_f32_e32 v144, 0x3f763a35, v167
	v_mul_f32_e32 v198, 0xbeb8f4ab, v179
	;; [unrolled: 1-line block ×3, first 2 shown]
	v_add_f32_e32 v6, v7, v6
	v_dual_add_f32 v4, v5, v4 :: v_dual_fmamk_f32 v7, v32, 0x3f3d2fb0, v114
	v_fmamk_f32 v5, v18, 0x3f763a35, v63
	v_dual_mul_f32 v190, 0xbf65296c, v174 :: v_dual_fmamk_f32 v201, v22, 0xbf65296c, v212
	v_mul_f32_e32 v140, 0x3ee437d1, v164
	s_delay_alu instid0(VALU_DEP_3)
	v_dual_add_f32 v6, v7, v6 :: v_dual_add_f32 v5, v5, v4
	v_fmamk_f32 v4, v25, 0x3f4c4adb, v120
	v_fmamk_f32 v7, v33, 0xbe8c1d8e, v115
	v_mul_f32_e32 v121, 0xbe8c1d8e, v109
	v_mul_f32_e32 v181, 0xbf65296c, v173
	v_mul_f32_e32 v162, 0xbeb8f4ab, v193
	v_add_f32_e32 v4, v1, v4
	v_mul_f32_e32 v183, 0x3f763a35, v172
	v_fmamk_f32 v8, v24, 0xbf763a35, v121
	v_dual_mul_f32 v142, 0x3f2c7751, v192 :: v_dual_mul_f32 v197, 0x3f2c7751, v174
	v_mul_f32_e32 v128, 0x3f3d2fb0, v147
	v_mul_f32_e32 v194, 0xbf65296c, v14
	s_delay_alu instid0(VALU_DEP_4) | instskip(SKIP_4) | instid1(VALU_DEP_4)
	v_add_f32_e32 v4, v8, v4
	v_fmamk_f32 v8, v26, 0x3eb8f4ab, v122
	v_mul_f32_e32 v184, 0x3ee437d1, v104
	v_dual_mul_f32 v180, 0xbf7ee86f, v14 :: v_dual_mul_f32 v199, 0xbf7ee86f, v193
	v_mul_f32_e32 v182, 0xbe3c28d5, v167
	v_add_f32_e32 v4, v8, v4
	v_fmamk_f32 v8, v27, 0x3f06c442, v112
	v_mul_f32_e32 v209, 0xbf59a7d5, v164
	v_mul_f32_e32 v196, 0x3f763a35, v173
	v_fmac_f32_e32 v41, 0xbf06c442, v26
	v_fmac_f32_e32 v50, 0x3eb8f4ab, v24
	v_add_f32_e32 v4, v8, v4
	v_fmamk_f32 v8, v28, 0xbf7ee86f, v113
	v_mul_f32_e32 v137, 0x3f65296c, v192
	v_fmac_f32_e32 v34, 0x3f2c7751, v27
	v_fmac_f32_e32 v120, 0xbf4c4adb, v25
	;; [unrolled: 1-line block ×3, first 2 shown]
	v_add_f32_e32 v8, v8, v4
	v_add_f32_e32 v4, v7, v6
	v_fmac_f32_e32 v62, 0x3f2c7751, v22
	v_fmac_f32_e32 v212, 0x3f65296c, v22
	v_mul_f32_e32 v125, 0x3f6eb680, v123
	v_dual_add_f32 v7, v9, v8 :: v_dual_fmamk_f32 v8, v22, 0x3e3c28d5, v110
	v_fmamk_f32 v9, v30, 0xbe8c1d8e, v144
	v_mul_f32_e32 v189, 0x3eb8f4ab, v173
	v_fmamk_f32 v15, v24, 0x3f4c4adb, v185
	s_delay_alu instid0(VALU_DEP_4)
	v_dual_mul_f32 v166, 0xbf7ba420, v109 :: v_dual_add_f32 v7, v8, v7
	v_fmamk_f32 v8, v18, 0xbf65296c, v111
	v_mul_f32_e32 v152, 0xbf06c442, v173
	v_mul_f32_e32 v150, 0xbe8c1d8e, v129
	;; [unrolled: 1-line block ×4, first 2 shown]
	v_dual_add_f32 v7, v8, v7 :: v_dual_fmamk_f32 v8, v25, 0x3f763a35, v148
	v_mul_f32_e32 v207, 0xbf1a4643, v129
	v_mul_f32_e32 v158, 0x3f4c4adb, v193
	v_fmamk_f32 v138, v30, 0xbf1a4643, v187
	v_mul_f32_e32 v154, 0x3f6eb680, v171
	v_dual_add_f32 v8, v1, v8 :: v_dual_mul_f32 v143, 0xbf4c4adb, v14
	v_mul_f32_e32 v155, 0xbf59a7d5, v147
	v_mul_f32_e32 v205, 0x3f3d2fb0, v104
	v_add_f32_e32 v49, v66, v49
	s_delay_alu instid0(VALU_DEP_4) | instskip(SKIP_2) | instid1(VALU_DEP_4)
	v_add_f32_e32 v8, v10, v8
	v_fmamk_f32 v10, v26, 0xbf2c7751, v124
	v_mul_f32_e32 v153, 0x3f7ee86f, v174
	v_dual_mul_f32 v90, 0xbeb8f4ab, v14 :: v_dual_add_f32 v49, v92, v49
	s_delay_alu instid0(VALU_DEP_3) | instskip(SKIP_2) | instid1(VALU_DEP_4)
	v_dual_mul_f32 v171, 0xbf1a4643, v171 :: v_dual_add_f32 v8, v10, v8
	v_mul_f32_e32 v127, 0x3ee437d1, v139
	v_fmac_f32_e32 v124, 0x3f2c7751, v26
	v_fmamk_f32 v91, v23, 0x3f6eb680, v90
	v_add_f32_e32 v49, v105, v49
	v_mul_f32_e32 v61, 0xbf59a7d5, v123
	v_fmamk_f32 v10, v27, 0x3f65296c, v127
	v_fmac_f32_e32 v51, 0xbe3c28d5, v25
	v_fmac_f32_e32 v107, 0xbf06c442, v25
	v_add_f32_e32 v49, v136, v49
	s_delay_alu instid0(VALU_DEP_4) | instskip(NEXT) | instid1(VALU_DEP_4)
	v_dual_fmac_f32 v99, 0x3f4c4adb, v27 :: v_dual_add_f32 v8, v10, v8
	v_dual_fmamk_f32 v10, v28, 0x3e3c28d5, v133 :: v_dual_add_f32 v51, v1, v51
	v_fmac_f32_e32 v37, 0xbf4c4adb, v28
	v_fmac_f32_e32 v57, 0xbe3c28d5, v29
	;; [unrolled: 1-line block ×3, first 2 shown]
	s_delay_alu instid0(VALU_DEP_4)
	v_add_f32_e32 v8, v10, v8
	v_fmamk_f32 v10, v29, 0xbf7ee86f, v116
	v_fmac_f32_e32 v63, 0xbf763a35, v18
	v_fmac_f32_e32 v149, 0x3f06c442, v24
	;; [unrolled: 1-line block ×4, first 2 shown]
	v_add_f32_e32 v8, v10, v8
	v_fmamk_f32 v10, v22, 0x3eb8f4ab, v125
	v_fmac_f32_e32 v125, 0xbeb8f4ab, v22
	v_fmac_f32_e32 v185, 0xbf4c4adb, v24
	s_delay_alu instid0(VALU_DEP_3) | instskip(SKIP_2) | instid1(VALU_DEP_1)
	v_add_f32_e32 v8, v10, v8
	v_fmamk_f32 v10, v18, 0x3f4c4adb, v126
	v_fmamk_f32 v6, v23, 0xbf1a4643, v143
	v_add_f32_e32 v6, v0, v6
	s_delay_alu instid0(VALU_DEP_1) | instskip(NEXT) | instid1(VALU_DEP_1)
	v_dual_add_f32 v6, v9, v6 :: v_dual_fmamk_f32 v9, v31, 0x3f6eb680, v145
	v_dual_add_f32 v6, v9, v6 :: v_dual_fmamk_f32 v9, v19, 0xbf59a7d5, v152
	v_dual_fmac_f32 v52, 0x3f7ee86f, v18 :: v_dual_fmac_f32 v113, 0x3f7ee86f, v28
	s_delay_alu instid0(VALU_DEP_2) | instskip(NEXT) | instid1(VALU_DEP_1)
	v_dual_add_f32 v6, v9, v6 :: v_dual_fmamk_f32 v9, v20, 0x3dbcf732, v153
	v_add_f32_e32 v6, v9, v6
	v_fmamk_f32 v9, v21, 0x3f3d2fb0, v134
	v_fmac_f32_e32 v111, 0x3f65296c, v18
	s_delay_alu instid0(VALU_DEP_2) | instskip(NEXT) | instid1(VALU_DEP_1)
	v_dual_add_f32 v6, v9, v6 :: v_dual_mul_f32 v135, 0xbe3c28d5, v193
	v_fmamk_f32 v9, v32, 0xbf7ba420, v135
	s_delay_alu instid0(VALU_DEP_1) | instskip(SKIP_1) | instid1(VALU_DEP_1)
	v_add_f32_e32 v6, v9, v6
	v_fmamk_f32 v9, v33, 0x3ee437d1, v137
	v_dual_add_f32 v6, v9, v6 :: v_dual_fmamk_f32 v9, v23, 0xbe8c1d8e, v168
	v_dual_fmac_f32 v110, 0xbe3c28d5, v22 :: v_dual_fmac_f32 v133, 0xbe3c28d5, v28
	s_delay_alu instid0(VALU_DEP_2) | instskip(NEXT) | instid1(VALU_DEP_1)
	v_add_f32_e32 v9, v0, v9
	v_add_f32_e32 v11, v11, v9
	v_dual_add_f32 v9, v10, v8 :: v_dual_fmamk_f32 v8, v25, 0x3f7ee86f, v165
	s_delay_alu instid0(VALU_DEP_2) | instskip(SKIP_1) | instid1(VALU_DEP_3)
	v_dual_fmac_f32 v165, 0xbf7ee86f, v25 :: v_dual_add_f32 v10, v12, v11
	v_fmamk_f32 v12, v24, 0x3e3c28d5, v166
	v_dual_add_f32 v8, v1, v8 :: v_dual_fmamk_f32 v11, v19, 0x3ee437d1, v181
	s_delay_alu instid0(VALU_DEP_1) | instskip(SKIP_1) | instid1(VALU_DEP_3)
	v_add_f32_e32 v8, v12, v8
	v_fmamk_f32 v12, v26, 0xbf763a35, v150
	v_add_f32_e32 v10, v11, v10
	v_fmac_f32_e32 v150, 0x3f763a35, v26
	s_delay_alu instid0(VALU_DEP_3) | instskip(SKIP_1) | instid1(VALU_DEP_1)
	v_add_f32_e32 v8, v12, v8
	v_fmamk_f32 v12, v27, 0xbeb8f4ab, v151
	v_dual_mul_f32 v175, 0xbe3c28d5, v174 :: v_dual_add_f32 v8, v12, v8
	s_delay_alu instid0(VALU_DEP_1) | instskip(SKIP_1) | instid1(VALU_DEP_2)
	v_fmamk_f32 v11, v20, 0xbf7ba420, v175
	v_fmamk_f32 v12, v28, 0x3f65296c, v140
	v_dual_add_f32 v10, v11, v10 :: v_dual_fmamk_f32 v11, v21, 0x3dbcf732, v176
	s_delay_alu instid0(VALU_DEP_2) | instskip(NEXT) | instid1(VALU_DEP_2)
	v_add_f32_e32 v12, v12, v8
	v_dual_add_f32 v10, v11, v10 :: v_dual_fmamk_f32 v11, v32, 0x3f6eb680, v162
	s_delay_alu instid0(VALU_DEP_1) | instskip(SKIP_1) | instid1(VALU_DEP_1)
	v_dual_fmac_f32 v151, 0x3eb8f4ab, v27 :: v_dual_add_f32 v10, v11, v10
	v_fmamk_f32 v11, v33, 0xbf1a4643, v163
	v_dual_add_f32 v8, v11, v10 :: v_dual_add_f32 v11, v13, v12
	v_fmamk_f32 v12, v22, 0xbf4c4adb, v146
	v_fmamk_f32 v10, v23, 0x3dbcf732, v180
	v_fmac_f32_e32 v141, 0xbf06c442, v29
	s_delay_alu instid0(VALU_DEP_3) | instskip(SKIP_1) | instid1(VALU_DEP_1)
	v_dual_fmac_f32 v146, 0x3f4c4adb, v22 :: v_dual_add_f32 v11, v12, v11
	v_fmamk_f32 v12, v18, 0xbf2c7751, v128
	v_dual_add_f32 v11, v12, v11 :: v_dual_fmamk_f32 v12, v25, 0x3f65296c, v184
	s_delay_alu instid0(VALU_DEP_1) | instskip(NEXT) | instid1(VALU_DEP_1)
	v_add_f32_e32 v12, v1, v12
	v_dual_add_f32 v12, v15, v12 :: v_dual_fmamk_f32 v15, v26, 0xbe3c28d5, v186
	v_dual_add_f32 v10, v0, v10 :: v_dual_fmamk_f32 v13, v30, 0xbf7ba420, v182
	v_fmac_f32_e32 v186, 0x3e3c28d5, v26
	s_delay_alu instid0(VALU_DEP_2) | instskip(NEXT) | instid1(VALU_DEP_1)
	v_dual_add_f32 v10, v13, v10 :: v_dual_fmamk_f32 v13, v31, 0xbe8c1d8e, v183
	v_dual_add_f32 v10, v13, v10 :: v_dual_fmamk_f32 v13, v19, 0x3f6eb680, v189
	s_delay_alu instid0(VALU_DEP_1) | instskip(SKIP_1) | instid1(VALU_DEP_2)
	v_dual_add_f32 v10, v13, v10 :: v_dual_fmamk_f32 v13, v20, 0x3ee437d1, v190
	v_fmac_f32_e32 v140, 0xbf65296c, v28
	v_add_f32_e32 v10, v13, v10
	v_dual_fmamk_f32 v13, v21, 0xbf59a7d5, v191 :: v_dual_add_f32 v12, v15, v12
	v_fmamk_f32 v15, v27, 0xbf763a35, v161
	s_delay_alu instid0(VALU_DEP_2) | instskip(NEXT) | instid1(VALU_DEP_2)
	v_dual_fmac_f32 v161, 0x3f763a35, v27 :: v_dual_add_f32 v10, v13, v10
	v_dual_fmamk_f32 v13, v32, 0xbf1a4643, v158 :: v_dual_add_f32 v12, v15, v12
	v_fmamk_f32 v15, v28, 0xbf2c7751, v159
	v_fmac_f32_e32 v159, 0x3f2c7751, v28
	s_delay_alu instid0(VALU_DEP_2) | instskip(NEXT) | instid1(VALU_DEP_1)
	v_dual_add_f32 v12, v15, v12 :: v_dual_fmamk_f32 v15, v29, 0x3eb8f4ab, v154
	v_dual_add_f32 v12, v15, v12 :: v_dual_fmamk_f32 v15, v22, 0x3f7ee86f, v160
	s_delay_alu instid0(VALU_DEP_1)
	v_dual_add_f32 v12, v15, v12 :: v_dual_fmamk_f32 v15, v18, 0x3f06c442, v155
	v_add_f32_e32 v10, v13, v10
	v_fmamk_f32 v13, v33, 0x3f3d2fb0, v142
	v_fmac_f32_e32 v128, 0x3f2c7751, v18
	v_fmac_f32_e32 v116, 0x3f7ee86f, v29
	;; [unrolled: 1-line block ×3, first 2 shown]
	s_delay_alu instid0(VALU_DEP_4) | instskip(NEXT) | instid1(VALU_DEP_1)
	v_dual_add_f32 v10, v13, v10 :: v_dual_fmamk_f32 v13, v23, 0x3ee437d1, v194
	v_add_f32_e32 v13, v0, v13
	s_delay_alu instid0(VALU_DEP_1) | instskip(SKIP_2) | instid1(VALU_DEP_3)
	v_dual_add_f32 v138, v138, v13 :: v_dual_add_f32 v13, v15, v12
	v_fmamk_f32 v12, v25, 0x3f2c7751, v205
	v_fmac_f32_e32 v205, 0xbf2c7751, v25
	v_add_f32_e32 v15, v177, v138
	s_delay_alu instid0(VALU_DEP_3) | instskip(SKIP_1) | instid1(VALU_DEP_2)
	v_dual_fmamk_f32 v177, v24, 0x3f7ee86f, v206 :: v_dual_add_f32 v12, v1, v12
	v_fmamk_f32 v138, v19, 0xbe8c1d8e, v196
	v_dual_add_f32 v12, v177, v12 :: v_dual_fmamk_f32 v177, v26, 0x3f4c4adb, v207
	s_delay_alu instid0(VALU_DEP_2) | instskip(NEXT) | instid1(VALU_DEP_2)
	v_dual_add_f32 v15, v138, v15 :: v_dual_fmamk_f32 v138, v20, 0x3f3d2fb0, v197
	v_dual_fmac_f32 v207, 0xbf4c4adb, v26 :: v_dual_add_f32 v12, v177, v12
	v_fmamk_f32 v177, v27, 0x3e3c28d5, v208
	s_delay_alu instid0(VALU_DEP_3) | instskip(NEXT) | instid1(VALU_DEP_2)
	v_dual_add_f32 v15, v138, v15 :: v_dual_fmamk_f32 v138, v21, 0x3f6eb680, v198
	v_dual_add_f32 v12, v177, v12 :: v_dual_fmamk_f32 v177, v28, 0xbf06c442, v209
	s_delay_alu instid0(VALU_DEP_1) | instskip(SKIP_2) | instid1(VALU_DEP_3)
	v_dual_add_f32 v178, v177, v12 :: v_dual_mul_f32 v177, 0xbf7ee86f, v167
	v_dual_mul_f32 v167, 0xbf2c7751, v167 :: v_dual_add_f32 v64, v64, v65
	v_add_f32_e32 v65, v0, v91
	v_dual_add_f32 v195, v195, v178 :: v_dual_mul_f32 v178, 0xbf4c4adb, v172
	s_delay_alu instid0(VALU_DEP_4) | instskip(NEXT) | instid1(VALU_DEP_4)
	v_fmamk_f32 v202, v30, 0x3dbcf732, v177
	v_fmamk_f32 v89, v30, 0x3f3d2fb0, v167
	v_mul_f32_e32 v91, 0xbf65296c, v172
	s_delay_alu instid0(VALU_DEP_4) | instskip(SKIP_2) | instid1(VALU_DEP_4)
	v_add_f32_e32 v201, v201, v195
	v_mul_f32_e32 v195, 0x3f6eb680, v104
	v_dual_add_f32 v15, v138, v15 :: v_dual_fmamk_f32 v138, v32, 0x3dbcf732, v199
	v_dual_add_f32 v65, v89, v65 :: v_dual_fmamk_f32 v66, v31, 0x3ee437d1, v91
	v_add_f32_e32 v48, v48, v64
	s_delay_alu instid0(VALU_DEP_3) | instskip(NEXT) | instid1(VALU_DEP_3)
	v_dual_fmamk_f32 v204, v31, 0xbf1a4643, v178 :: v_dual_add_f32 v15, v138, v15
	v_dual_fmamk_f32 v138, v33, 0xbf59a7d5, v200 :: v_dual_add_f32 v65, v66, v65
	s_delay_alu instid0(VALU_DEP_3) | instskip(NEXT) | instid1(VALU_DEP_2)
	v_dual_add_f32 v48, v55, v48 :: v_dual_mul_f32 v89, 0xbf763a35, v174
	v_dual_mul_f32 v55, 0xbf7ee86f, v173 :: v_dual_add_f32 v12, v138, v15
	v_fmamk_f32 v15, v23, 0x3f3d2fb0, v211
	v_mul_f32_e32 v138, 0x3f6eb680, v147
	s_delay_alu instid0(VALU_DEP_4) | instskip(SKIP_1) | instid1(VALU_DEP_4)
	v_add_f32_e32 v66, v67, v48
	v_mul_f32_e32 v48, 0xbf7ba420, v147
	v_dual_mul_f32 v104, 0xbe3c28d5, v173 :: v_dual_add_f32 v15, v0, v15
	s_delay_alu instid0(VALU_DEP_4) | instskip(NEXT) | instid1(VALU_DEP_4)
	v_fmamk_f32 v203, v18, 0xbeb8f4ab, v138
	v_dual_add_f32 v17, v17, v66 :: v_dual_add_f32 v16, v16, v49
	s_delay_alu instid0(VALU_DEP_4) | instskip(NEXT) | instid1(VALU_DEP_3)
	v_fmamk_f32 v49, v18, 0x3e3c28d5, v48
	v_dual_add_f32 v202, v202, v15 :: v_dual_add_f32 v15, v203, v201
	v_mul_f32_e32 v201, 0x3f3d2fb0, v109
	v_fmamk_f32 v203, v25, 0x3eb8f4ab, v195
	v_fmamk_f32 v213, v19, 0xbf7ba420, v104
	v_mul_f32_e32 v109, 0x3f06c442, v174
	v_add_f32_e32 v17, v156, v17
	s_delay_alu instid0(VALU_DEP_4) | instskip(SKIP_2) | instid1(VALU_DEP_4)
	v_dual_fmamk_f32 v214, v24, 0x3f2c7751, v201 :: v_dual_add_f32 v203, v1, v203
	v_fmamk_f32 v67, v19, 0x3dbcf732, v55
	v_add_f32_e32 v16, v95, v16
	v_add_f32_e32 v92, v157, v17
	v_fmamk_f32 v66, v20, 0xbe8c1d8e, v89
	v_add_f32_e32 v214, v214, v203
	v_mul_f32_e32 v203, 0x3dbcf732, v139
	v_dual_mul_f32 v139, 0x3f65296c, v193 :: v_dual_add_f32 v204, v204, v202
	v_mul_f32_e32 v202, 0x3ee437d1, v129
	v_dual_mul_f32 v129, 0x3f763a35, v179 :: v_dual_add_f32 v16, v54, v16
	v_dual_add_f32 v54, v96, v92 :: v_dual_add_f32 v65, v67, v65
	s_delay_alu instid0(VALU_DEP_3) | instskip(NEXT) | instid1(VALU_DEP_3)
	v_fmamk_f32 v215, v26, 0x3f65296c, v202
	v_fmamk_f32 v216, v21, 0xbe8c1d8e, v129
	s_delay_alu instid0(VALU_DEP_4) | instskip(NEXT) | instid1(VALU_DEP_4)
	v_add_f32_e32 v16, v40, v16
	v_dual_add_f32 v40, v53, v54 :: v_dual_add_f32 v65, v66, v65
	s_delay_alu instid0(VALU_DEP_4) | instskip(SKIP_1) | instid1(VALU_DEP_4)
	v_add_f32_e32 v214, v215, v214
	v_dual_fmamk_f32 v215, v27, 0x3f7ee86f, v203 :: v_dual_add_f32 v204, v213, v204
	v_dual_fmamk_f32 v213, v20, 0xbf59a7d5, v109 :: v_dual_add_f32 v42, v42, v16
	s_delay_alu instid0(VALU_DEP_4) | instskip(NEXT) | instid1(VALU_DEP_3)
	v_add_f32_e32 v39, v39, v40
	v_add_f32_e32 v214, v215, v214
	s_delay_alu instid0(VALU_DEP_3)
	v_dual_add_f32 v40, v50, v51 :: v_dual_add_f32 v213, v213, v204
	v_mul_f32_e32 v204, 0xbe8c1d8e, v164
	v_mul_f32_e32 v164, 0x3eb8f4ab, v192
	v_fma_f32 v50, 0xbf7ba420, v23, -v58
	v_dual_fmamk_f32 v64, v22, 0x3f06c442, v61 :: v_dual_add_f32 v35, v35, v39
	v_add_f32_e32 v213, v216, v213
	v_fmamk_f32 v216, v32, 0x3ee437d1, v139
	v_fmamk_f32 v215, v28, 0x3f763a35, v204
	v_mul_f32_e32 v67, 0xbf4c4adb, v179
	v_dual_add_f32 v39, v41, v40 :: v_dual_add_f32 v40, v0, v50
	s_delay_alu instid0(VALU_DEP_4) | instskip(NEXT) | instid1(VALU_DEP_4)
	v_dual_add_f32 v213, v216, v213 :: v_dual_fmamk_f32 v216, v33, 0x3f6eb680, v164
	v_dual_add_f32 v214, v215, v214 :: v_dual_fmamk_f32 v215, v29, 0x3f4c4adb, v171
	v_fma_f32 v41, 0x3f6eb680, v30, -v59
	v_add_f32_e32 v42, v44, v42
	s_delay_alu instid0(VALU_DEP_4) | instskip(NEXT) | instid1(VALU_DEP_4)
	v_dual_add_f32 v14, v216, v213 :: v_dual_add_f32 v43, v43, v35
	v_dual_add_f32 v213, v215, v214 :: v_dual_add_f32 v34, v34, v39
	s_delay_alu instid0(VALU_DEP_3) | instskip(SKIP_1) | instid1(VALU_DEP_3)
	v_dual_add_f32 v39, v41, v40 :: v_dual_add_f32 v42, v46, v42
	v_fmamk_f32 v66, v21, 0xbf1a4643, v67
	v_add_f32_e32 v64, v64, v213
	v_fma_f32 v40, 0xbf59a7d5, v31, -v97
	v_add_f32_e32 v41, v45, v43
	v_add_f32_e32 v35, v60, v42
	v_add_f32_e32 v37, v37, v34
	v_add_f32_e32 v17, v49, v64
	v_mul_f32_e32 v49, 0xbf06c442, v193
	v_add_f32_e32 v64, v66, v65
	v_dual_mul_f32 v66, 0xbe3c28d5, v192 :: v_dual_add_f32 v39, v40, v39
	v_fma_f32 v40, 0x3f3d2fb0, v19, -v100
	v_add_f32_e32 v34, v47, v41
	v_add_f32_e32 v36, v36, v37
	v_fma_f32 v42, 0x3dbcf732, v31, -v119
	v_fmac_f32_e32 v38, 0xbf763a35, v22
	v_dual_fmamk_f32 v54, v33, 0xbf7ba420, v66 :: v_dual_add_f32 v37, v40, v39
	v_fma_f32 v39, 0xbf1a4643, v20, -v93
	v_fma_f32 v51, 0x3ee437d1, v23, -v194
	v_fmac_f32_e32 v166, 0xbe3c28d5, v24
	v_fmac_f32_e32 v112, 0xbf06c442, v27
	v_add_f32_e32 v36, v38, v36
	v_fma_f32 v44, 0x3f6eb680, v31, -v145
	v_add_f32_e32 v38, v39, v37
	v_fma_f32 v39, 0x3ee437d1, v21, -v103
	v_fma_f32 v41, 0x3ee437d1, v30, -v118
	v_add_f32_e32 v37, v52, v36
	v_fma_f32 v36, 0xbf59a7d5, v23, -v117
	;; [unrolled: 3-line block ×3, first 2 shown]
	v_fmac_f32_e32 v122, 0xbeb8f4ab, v26
	v_add_f32_e32 v36, v0, v36
	v_fma_f32 v50, 0xbe8c1d8e, v31, -v183
	v_fmac_f32_e32 v148, 0xbf763a35, v25
	v_add_f32_e32 v38, v39, v38
	v_fma_f32 v39, 0x3dbcf732, v33, -v102
	v_dual_add_f32 v41, v41, v36 :: v_dual_fmac_f32 v98, 0xbf7ee86f, v26
	v_fma_f32 v43, 0xbe8c1d8e, v30, -v144
	v_dual_fmac_f32 v206, 0xbf7ee86f, v24 :: v_dual_fmac_f32 v203, 0xbf7ee86f, v27
	s_delay_alu instid0(VALU_DEP_3)
	v_dual_add_f32 v36, v39, v38 :: v_dual_add_f32 v39, v42, v41
	v_add_f32_e32 v41, v1, v120
	v_fmac_f32_e32 v108, 0x3f65296c, v24
	v_fma_f32 v42, 0xbf7ba420, v21, -v132
	v_fmac_f32_e32 v126, 0xbf4c4adb, v18
	v_fmac_f32_e32 v106, 0xbf2c7751, v29
	v_add_f32_e32 v41, v121, v41
	v_add_f32_e32 v40, v1, v107
	v_fma_f32 v47, 0xbf7ba420, v30, -v182
	v_fmac_f32_e32 v48, 0xbe3c28d5, v18
	v_fmac_f32_e32 v210, 0x3f763a35, v29
	v_add_f32_e32 v41, v122, v41
	v_fmac_f32_e32 v184, 0xbf65296c, v25
	v_fma_f32 v45, 0xbf59a7d5, v30, -v169
	v_fmac_f32_e32 v209, 0x3f06c442, v28
	s_delay_alu instid0(VALU_DEP_4) | instskip(SKIP_4) | instid1(VALU_DEP_4)
	v_dual_fmac_f32 v204, 0xbf763a35, v28 :: v_dual_add_f32 v41, v112, v41
	v_add_f32_e32 v40, v108, v40
	v_fmac_f32_e32 v208, 0xbe3c28d5, v27
	v_fma_f32 v52, 0xbf1a4643, v32, -v158
	v_fmac_f32_e32 v195, 0xbeb8f4ab, v25
	v_dual_add_f32 v41, v113, v41 :: v_dual_add_f32 v40, v98, v40
	v_fmac_f32_e32 v201, 0xbf2c7751, v24
	v_fmac_f32_e32 v202, 0xbf65296c, v26
	v_fmamk_f32 v65, v32, 0xbf59a7d5, v49
	v_fmac_f32_e32 v138, 0x3eb8f4ab, v18
	v_dual_add_f32 v40, v99, v40 :: v_dual_fmac_f32 v61, 0xbf06c442, v22
	v_fmac_f32_e32 v171, 0xbf4c4adb, v29
	s_delay_alu instid0(VALU_DEP_4)
	v_add_f32_e32 v53, v65, v64
	ds_store_2addr_b64 v94, v[14:15], v[12:13] offset0:100 offset1:150
	v_add_f32_e32 v38, v56, v40
	v_fma_f32 v40, 0xbf1a4643, v19, -v130
	v_dual_add_f32 v16, v54, v53 :: v_dual_add_nc_u32 v13, 0x1000, v94
	v_fma_f32 v53, 0x3dbcf732, v32, -v199
	s_delay_alu instid0(VALU_DEP_3)
	v_dual_add_f32 v38, v57, v38 :: v_dual_add_f32 v39, v40, v39
	v_fma_f32 v40, 0x3f6eb680, v20, -v131
	ds_store_2addr_b64 v94, v[34:35], v[16:17] offset1:50
	v_add_nc_u32_e32 v16, 0x800, v94
	v_add_f32_e32 v38, v62, v38
	v_add_nc_u32_e32 v12, 0xc00, v94
	s_delay_alu instid0(VALU_DEP_2) | instskip(SKIP_1) | instid1(VALU_DEP_2)
	v_dual_add_f32 v40, v40, v39 :: v_dual_add_f32 v39, v63, v38
	v_fma_f32 v38, 0xbf1a4643, v23, -v143
	v_add_f32_e32 v40, v42, v40
	v_fma_f32 v42, 0x3f3d2fb0, v32, -v114
	s_delay_alu instid0(VALU_DEP_3) | instskip(NEXT) | instid1(VALU_DEP_2)
	v_add_f32_e32 v38, v0, v38
	v_add_f32_e32 v40, v42, v40
	v_fma_f32 v42, 0xbe8c1d8e, v33, -v115
	s_delay_alu instid0(VALU_DEP_1) | instskip(NEXT) | instid1(VALU_DEP_1)
	v_dual_add_f32 v43, v43, v38 :: v_dual_add_f32 v38, v42, v40
	v_dual_add_f32 v40, v106, v41 :: v_dual_add_f32 v41, v44, v43
	v_fma_f32 v42, 0xbf59a7d5, v19, -v152
	v_add_f32_e32 v43, v1, v148
	v_fma_f32 v44, 0x3dbcf732, v20, -v153
	s_delay_alu instid0(VALU_DEP_4) | instskip(NEXT) | instid1(VALU_DEP_3)
	v_add_f32_e32 v40, v110, v40
	v_dual_add_f32 v42, v42, v41 :: v_dual_add_f32 v43, v149, v43
	s_delay_alu instid0(VALU_DEP_2) | instskip(SKIP_1) | instid1(VALU_DEP_3)
	v_add_f32_e32 v41, v111, v40
	v_fma_f32 v40, 0xbe8c1d8e, v23, -v168
	v_add_f32_e32 v42, v44, v42
	v_fma_f32 v44, 0x3f3d2fb0, v21, -v134
	v_add_f32_e32 v43, v124, v43
	s_delay_alu instid0(VALU_DEP_4) | instskip(NEXT) | instid1(VALU_DEP_3)
	v_add_f32_e32 v40, v0, v40
	v_add_f32_e32 v42, v44, v42
	v_fma_f32 v44, 0xbf7ba420, v32, -v135
	s_delay_alu instid0(VALU_DEP_3) | instskip(SKIP_1) | instid1(VALU_DEP_3)
	v_dual_add_f32 v43, v127, v43 :: v_dual_add_f32 v40, v45, v40
	v_fma_f32 v45, 0x3f3d2fb0, v31, -v170
	v_add_f32_e32 v42, v44, v42
	v_fma_f32 v44, 0x3ee437d1, v33, -v137
	s_delay_alu instid0(VALU_DEP_4) | instskip(NEXT) | instid1(VALU_DEP_2)
	v_add_f32_e32 v43, v133, v43
	v_dual_add_f32 v45, v45, v40 :: v_dual_add_f32 v40, v44, v42
	s_delay_alu instid0(VALU_DEP_1) | instskip(SKIP_3) | instid1(VALU_DEP_4)
	v_dual_add_f32 v42, v116, v43 :: v_dual_add_f32 v43, v46, v45
	v_fma_f32 v44, 0xbf7ba420, v20, -v175
	v_add_f32_e32 v45, v1, v165
	v_fma_f32 v46, 0x3dbcf732, v21, -v176
	v_add_f32_e32 v42, v125, v42
	s_delay_alu instid0(VALU_DEP_3) | instskip(NEXT) | instid1(VALU_DEP_2)
	v_dual_add_f32 v44, v44, v43 :: v_dual_add_f32 v45, v166, v45
	v_add_f32_e32 v43, v126, v42
	v_fma_f32 v42, 0x3dbcf732, v23, -v180
	s_delay_alu instid0(VALU_DEP_3) | instskip(SKIP_1) | instid1(VALU_DEP_3)
	v_add_f32_e32 v44, v46, v44
	v_fma_f32 v46, 0x3f6eb680, v32, -v162
	v_dual_add_f32 v45, v150, v45 :: v_dual_add_f32 v42, v0, v42
	s_delay_alu instid0(VALU_DEP_2) | instskip(SKIP_1) | instid1(VALU_DEP_3)
	v_add_f32_e32 v44, v46, v44
	v_fma_f32 v46, 0xbf1a4643, v33, -v163
	v_add_f32_e32 v45, v151, v45
	s_delay_alu instid0(VALU_DEP_2) | instskip(NEXT) | instid1(VALU_DEP_1)
	v_dual_add_f32 v47, v47, v42 :: v_dual_add_f32 v42, v46, v44
	v_dual_add_f32 v44, v140, v45 :: v_dual_add_f32 v45, v50, v47
	v_fma_f32 v46, 0x3f6eb680, v19, -v189
	v_fma_f32 v50, 0xbf59a7d5, v21, -v191
	v_add_f32_e32 v47, v1, v184
	s_delay_alu instid0(VALU_DEP_3) | instskip(SKIP_1) | instid1(VALU_DEP_2)
	v_dual_add_f32 v44, v141, v44 :: v_dual_add_f32 v45, v46, v45
	v_fma_f32 v46, 0x3ee437d1, v20, -v190
	v_dual_add_f32 v47, v185, v47 :: v_dual_add_f32 v44, v146, v44
	s_delay_alu instid0(VALU_DEP_1) | instskip(NEXT) | instid1(VALU_DEP_1)
	v_dual_add_f32 v46, v46, v45 :: v_dual_add_f32 v45, v128, v44
	v_add_f32_e32 v44, v50, v46
	v_fma_f32 v50, 0xbf1a4643, v30, -v187
	s_delay_alu instid0(VALU_DEP_2) | instskip(SKIP_1) | instid1(VALU_DEP_1)
	v_add_f32_e32 v44, v52, v44
	v_fma_f32 v52, 0x3f3d2fb0, v33, -v142
	v_add_f32_e32 v44, v52, v44
	v_fma_f32 v52, 0x3f3d2fb0, v23, -v211
	v_fma_f32 v23, 0x3f6eb680, v23, -v90
	s_delay_alu instid0(VALU_DEP_2) | instskip(SKIP_2) | instid1(VALU_DEP_2)
	v_add_f32_e32 v25, v0, v52
	v_add_f32_e32 v47, v186, v47
	v_fma_f32 v52, 0x3dbcf732, v30, -v177
	v_add_f32_e32 v46, v161, v47
	v_add_f32_e32 v47, v0, v51
	;; [unrolled: 1-line block ×5, first 2 shown]
	v_fma_f32 v23, 0x3f3d2fb0, v30, -v167
	v_add_f32_e32 v47, v50, v47
	v_fma_f32 v50, 0xbf7ba420, v31, -v188
	v_add_f32_e32 v1, v201, v1
	v_add_f32_e32 v24, v52, v25
	v_fma_f32 v25, 0xbf1a4643, v31, -v178
	s_delay_alu instid0(VALU_DEP_4) | instskip(SKIP_4) | instid1(VALU_DEP_4)
	v_dual_add_f32 v0, v23, v0 :: v_dual_add_f32 v47, v50, v47
	v_fma_f32 v50, 0xbe8c1d8e, v19, -v196
	v_fma_f32 v23, 0x3ee437d1, v31, -v91
	v_add_f32_e32 v1, v202, v1
	v_dual_add_f32 v51, v206, v51 :: v_dual_add_f32 v24, v25, v24
	v_add_f32_e32 v47, v50, v47
	v_fma_f32 v50, 0x3f3d2fb0, v20, -v197
	v_fma_f32 v25, 0xbf7ba420, v19, -v104
	v_add_f32_e32 v0, v23, v0
	v_fma_f32 v19, 0x3dbcf732, v19, -v55
	v_add_f32_e32 v1, v203, v1
	v_add_f32_e32 v47, v50, v47
	v_fma_f32 v50, 0x3f6eb680, v21, -v198
	v_add_f32_e32 v51, v207, v51
	v_add_f32_e32 v0, v19, v0
	v_fma_f32 v19, 0xbe8c1d8e, v20, -v89
	s_delay_alu instid0(VALU_DEP_4) | instskip(NEXT) | instid1(VALU_DEP_4)
	v_dual_add_f32 v1, v204, v1 :: v_dual_add_f32 v50, v50, v47
	v_dual_fmac_f32 v160, 0xbf7ee86f, v22 :: v_dual_add_f32 v51, v208, v51
	s_delay_alu instid0(VALU_DEP_3) | instskip(NEXT) | instid1(VALU_DEP_3)
	v_add_f32_e32 v0, v19, v0
	v_add_f32_e32 v1, v171, v1
	v_fma_f32 v19, 0xbf1a4643, v21, -v67
	v_dual_add_f32 v46, v159, v46 :: v_dual_add_f32 v23, v25, v24
	v_add_f32_e32 v51, v209, v51
	s_delay_alu instid0(VALU_DEP_4) | instskip(NEXT) | instid1(VALU_DEP_4)
	v_add_f32_e32 v22, v61, v1
	v_add_f32_e32 v0, v19, v0
	v_fma_f32 v19, 0xbf59a7d5, v32, -v49
	v_fma_f32 v24, 0xbf59a7d5, v20, -v109
	s_delay_alu instid0(VALU_DEP_2) | instskip(SKIP_1) | instid1(VALU_DEP_3)
	v_dual_add_f32 v18, v19, v0 :: v_dual_add_f32 v19, v48, v22
	v_add_f32_e32 v51, v210, v51
	v_add_f32_e32 v20, v24, v23
	v_fma_f32 v23, 0xbe8c1d8e, v21, -v129
	v_fma_f32 v21, 0x3ee437d1, v32, -v139
	s_delay_alu instid0(VALU_DEP_4) | instskip(NEXT) | instid1(VALU_DEP_3)
	v_dual_add_f32 v51, v212, v51 :: v_dual_fmac_f32 v154, 0xbeb8f4ab, v29
	v_add_f32_e32 v20, v23, v20
	v_fma_f32 v23, 0xbf7ba420, v33, -v66
	s_delay_alu instid0(VALU_DEP_3) | instskip(NEXT) | instid1(VALU_DEP_4)
	v_add_f32_e32 v1, v138, v51
	v_add_f32_e32 v46, v154, v46
	s_delay_alu instid0(VALU_DEP_4) | instskip(SKIP_2) | instid1(VALU_DEP_4)
	v_add_f32_e32 v20, v21, v20
	v_fma_f32 v21, 0x3f6eb680, v33, -v164
	v_add_f32_e32 v18, v23, v18
	v_add_f32_e32 v46, v160, v46
	s_delay_alu instid0(VALU_DEP_1) | instskip(SKIP_2) | instid1(VALU_DEP_1)
	v_dual_add_f32 v0, v21, v20 :: v_dual_add_f32 v47, v155, v46
	v_add_f32_e32 v46, v53, v50
	v_fma_f32 v50, 0xbf59a7d5, v33, -v200
	v_add_f32_e32 v46, v50, v46
	ds_store_2addr_b64 v94, v[10:11], v[8:9] offset0:200 offset1:250
	ds_store_2addr_b64 v16, v[6:7], v[4:5] offset0:44 offset1:94
	ds_store_2addr_b64 v16, v[2:3], v[36:37] offset0:144 offset1:194
	ds_store_2addr_b64 v12, v[38:39], v[40:41] offset0:116 offset1:166
	ds_store_2addr_b64 v13, v[42:43], v[44:45] offset0:88 offset1:138
	ds_store_2addr_b64 v13, v[46:47], v[0:1] offset0:188 offset1:238
	ds_store_b64 v94, v[18:19] offset:6400
.LBB0_9:
	s_wait_alu 0xfffe
	s_or_b32 exec_lo, exec_lo, s0
	global_wb scope:SCOPE_SE
	s_wait_dscnt 0x0
	s_barrier_signal -1
	s_barrier_wait -1
	global_inv scope:SCOPE_SE
	ds_load_2addr_b64 v[0:3], v94 offset1:85
	ds_load_2addr_b64 v[4:7], v94 offset0:170 offset1:255
	scratch_load_b64 v[9:10], off, off offset:4 th:TH_LOAD_LU ; 8-byte Folded Reload
	v_add_nc_u32_e32 v8, 0x800, v94
	v_add_nc_u32_e32 v12, 0xc00, v94
	s_mov_b32 s0, 0xace01346
	s_mov_b32 s1, 0x3f534679
	s_wait_dscnt 0x1
	v_mul_f32_e32 v19, v78, v0
	v_mul_f32_e32 v18, v78, v1
	;; [unrolled: 1-line block ×4, first 2 shown]
	s_delay_alu instid0(VALU_DEP_2)
	v_fmac_f32_e32 v20, v79, v2
	s_wait_loadcnt 0x0
	v_mov_b32_e32 v44, v9
	ds_load_2addr_b64 v[8:11], v8 offset0:84 offset1:169
	ds_load_2addr_b64 v[12:15], v12 offset0:126 offset1:211
	scratch_load_b32 v46, off, off th:TH_LOAD_LU ; 4-byte Folded Reload
	s_wait_dscnt 0x2
	v_mul_f32_e32 v24, v84, v5
	v_fmac_f32_e32 v18, v77, v0
	v_fma_f32 v0, v77, v1, -v19
	v_mad_co_u64_u32 v[16:17], null, s6, v44, 0
	v_fma_f32 v1, v79, v3, -v21
	v_add_nc_u32_e32 v3, 0x1000, v94
	s_wait_dscnt 0x1
	v_mul_f32_e32 v33, v76, v10
	s_wait_dscnt 0x0
	v_mul_f32_e32 v35, v82, v12
	v_fmac_f32_e32 v24, v83, v4
	v_mul_f32_e32 v28, v74, v9
	v_mul_f32_e32 v36, v72, v15
	;; [unrolled: 1-line block ×4, first 2 shown]
	v_fma_f32 v33, v75, v11, -v33
	v_fmac_f32_e32 v28, v73, v8
	v_fmac_f32_e32 v36, v71, v14
	v_mul_f32_e32 v14, v72, v14
	v_fmac_f32_e32 v32, v75, v10
	v_fmac_f32_e32 v34, v81, v12
	v_fma_f32 v35, v81, v13, -v35
	v_cvt_f64_f32_e32 v[12:13], v33
	v_fma_f32 v14, v71, v15, -v14
	v_cvt_f64_f32_e32 v[10:11], v32
	v_cvt_f64_f32_e32 v[32:33], v34
	;; [unrolled: 1-line block ×4, first 2 shown]
	s_wait_alu 0xfffe
	v_mul_f64_e32 v[12:13], s[0:1], v[12:13]
	v_mul_f64_e32 v[10:11], s[0:1], v[10:11]
	;; [unrolled: 1-line block ×5, first 2 shown]
	s_delay_alu instid0(VALU_DEP_4)
	v_cvt_f32_f64_e32 v10, v[10:11]
	v_cvt_f32_f64_e32 v11, v[12:13]
	;; [unrolled: 1-line block ×4, first 2 shown]
	s_wait_loadcnt 0x0
	v_mad_co_u64_u32 v[42:43], null, s4, v46, 0
	v_mul_f32_e32 v22, v84, v4
	s_delay_alu instid0(VALU_DEP_1)
	v_fma_f32 v2, v83, v5, -v22
	v_cvt_f64_f32_e32 v[4:5], v18
	v_cvt_f64_f32_e32 v[18:19], v0
	;; [unrolled: 1-line block ×3, first 2 shown]
	v_mul_f32_e32 v1, v70, v6
	v_cvt_f64_f32_e32 v[26:27], v2
	v_mul_f32_e32 v2, v74, v8
	s_delay_alu instid0(VALU_DEP_3) | instskip(NEXT) | instid1(VALU_DEP_2)
	v_fma_f32 v29, v69, v7, -v1
	v_fma_f32 v30, v73, v9, -v2
	s_delay_alu instid0(VALU_DEP_2) | instskip(SKIP_1) | instid1(VALU_DEP_3)
	v_cvt_f64_f32_e32 v[8:9], v29
	v_cvt_f64_f32_e32 v[28:29], v28
	;; [unrolled: 1-line block ×3, first 2 shown]
	v_mul_f64_e32 v[4:5], s[0:1], v[4:5]
	v_mul_f64_e32 v[18:19], s[0:1], v[18:19]
	;; [unrolled: 1-line block ×7, first 2 shown]
	v_cvt_f32_f64_e32 v4, v[4:5]
	v_mad_co_u64_u32 v[44:45], null, s7, v44, v[17:18]
	v_mov_b32_e32 v17, v43
	v_cvt_f32_f64_e32 v5, v[18:19]
	v_cvt_f32_f64_e32 v19, v[22:23]
	v_cvt_f32_f64_e32 v23, v[26:27]
	v_cvt_f32_f64_e32 v26, v[36:37]
	v_mad_co_u64_u32 v[45:46], null, s5, v46, v[17:18]
	v_dual_mul_f32 v0, v70, v7 :: v_dual_mov_b32 v17, v44
	v_cvt_f64_f32_e32 v[20:21], v20
	s_delay_alu instid0(VALU_DEP_3) | instskip(NEXT) | instid1(VALU_DEP_3)
	v_mov_b32_e32 v43, v45
	v_fmac_f32_e32 v0, v69, v6
	s_delay_alu instid0(VALU_DEP_4) | instskip(NEXT) | instid1(VALU_DEP_3)
	v_lshlrev_b64_e32 v[16:17], 3, v[16:17]
	v_lshlrev_b64_e32 v[42:43], 3, v[42:43]
	s_delay_alu instid0(VALU_DEP_3) | instskip(SKIP_4) | instid1(VALU_DEP_2)
	v_cvt_f64_f32_e32 v[6:7], v0
	ds_load_2addr_b64 v[0:3], v3 offset0:168 offset1:253
	v_add_co_u32 v16, vcc_lo, s2, v16
	s_wait_alu 0xfffd
	v_add_co_ci_u32_e32 v17, vcc_lo, s3, v17, vcc_lo
	v_add_co_u32 v16, vcc_lo, v16, v42
	s_wait_alu 0xfffd
	s_delay_alu instid0(VALU_DEP_2)
	v_add_co_ci_u32_e32 v17, vcc_lo, v17, v43, vcc_lo
	global_store_b64 v[16:17], v[4:5], off
	s_wait_dscnt 0x0
	v_mul_f32_e32 v41, v88, v2
	v_cvt_f64_f32_e32 v[24:25], v24
	v_mul_f32_e32 v38, v86, v1
	v_dual_mul_f32 v39, v86, v0 :: v_dual_mul_f32 v40, v88, v3
	s_delay_alu instid0(VALU_DEP_4) | instskip(NEXT) | instid1(VALU_DEP_3)
	v_fma_f32 v41, v87, v3, -v41
	v_fmac_f32_e32 v38, v85, v0
	s_delay_alu instid0(VALU_DEP_3) | instskip(NEXT) | instid1(VALU_DEP_4)
	v_fma_f32 v15, v85, v1, -v39
	v_fmac_f32_e32 v40, v87, v2
	v_cvt_f64_f32_e32 v[0:1], v14
	v_mul_f64_e32 v[20:21], s[0:1], v[20:21]
	v_cvt_f64_f32_e32 v[2:3], v38
	v_cvt_f64_f32_e32 v[14:15], v15
	;; [unrolled: 1-line block ×4, first 2 shown]
	v_mul_f64_e32 v[6:7], s[0:1], v[6:7]
	v_mul_f64_e32 v[24:25], s[0:1], v[24:25]
	;; [unrolled: 1-line block ×3, first 2 shown]
	v_cvt_f32_f64_e32 v18, v[20:21]
	v_mul_f64_e32 v[2:3], s[0:1], v[2:3]
	v_mul_f64_e32 v[14:15], s[0:1], v[14:15]
	;; [unrolled: 1-line block ×4, first 2 shown]
	s_mul_u64 s[0:1], s[4:5], 0x2a8
	v_cvt_f32_f64_e32 v6, v[6:7]
	v_cvt_f32_f64_e32 v7, v[8:9]
	s_wait_alu 0xfffe
	v_add_co_u32 v20, vcc_lo, v16, s0
	s_wait_alu 0xfffd
	v_add_co_ci_u32_e32 v21, vcc_lo, s1, v17, vcc_lo
	s_delay_alu instid0(VALU_DEP_2) | instskip(SKIP_1) | instid1(VALU_DEP_2)
	v_add_co_u32 v8, vcc_lo, v20, s0
	s_wait_alu 0xfffd
	v_add_co_ci_u32_e32 v9, vcc_lo, s1, v21, vcc_lo
	v_cvt_f32_f64_e32 v22, v[24:25]
	v_cvt_f32_f64_e32 v24, v[28:29]
	;; [unrolled: 1-line block ×4, first 2 shown]
	global_store_b64 v[20:21], v[18:19], off
	v_cvt_f32_f64_e32 v0, v[2:3]
	v_cvt_f32_f64_e32 v1, v[14:15]
	v_cvt_f32_f64_e32 v2, v[38:39]
	v_cvt_f32_f64_e32 v3, v[40:41]
	v_add_co_u32 v14, vcc_lo, v8, s0
	s_wait_alu 0xfffd
	v_add_co_ci_u32_e32 v15, vcc_lo, s1, v9, vcc_lo
	s_delay_alu instid0(VALU_DEP_2) | instskip(SKIP_1) | instid1(VALU_DEP_2)
	v_add_co_u32 v28, vcc_lo, v14, s0
	s_wait_alu 0xfffd
	v_add_co_ci_u32_e32 v29, vcc_lo, s1, v15, vcc_lo
	s_delay_alu instid0(VALU_DEP_2) | instskip(SKIP_1) | instid1(VALU_DEP_2)
	;; [unrolled: 4-line block ×3, first 2 shown]
	v_add_co_u32 v16, vcc_lo, v4, s0
	s_wait_alu 0xfffd
	v_add_co_ci_u32_e32 v17, vcc_lo, s1, v5, vcc_lo
	global_store_b64 v[8:9], v[22:23], off
	v_add_co_u32 v8, vcc_lo, v16, s0
	s_wait_alu 0xfffd
	v_add_co_ci_u32_e32 v9, vcc_lo, s1, v17, vcc_lo
	global_store_b64 v[14:15], v[6:7], off
	;; [unrolled: 4-line block ×4, first 2 shown]
	global_store_b64 v[16:17], v[12:13], off
	global_store_b64 v[8:9], v[26:27], off
	;; [unrolled: 1-line block ×4, first 2 shown]
.LBB0_10:
	s_nop 0
	s_sendmsg sendmsg(MSG_DEALLOC_VGPRS)
	s_endpgm
	.section	.rodata,"a",@progbits
	.p2align	6, 0x0
	.amdhsa_kernel bluestein_single_back_len850_dim1_sp_op_CI_CI
		.amdhsa_group_segment_fixed_size 6800
		.amdhsa_private_segment_fixed_size 80
		.amdhsa_kernarg_size 104
		.amdhsa_user_sgpr_count 2
		.amdhsa_user_sgpr_dispatch_ptr 0
		.amdhsa_user_sgpr_queue_ptr 0
		.amdhsa_user_sgpr_kernarg_segment_ptr 1
		.amdhsa_user_sgpr_dispatch_id 0
		.amdhsa_user_sgpr_private_segment_size 0
		.amdhsa_wavefront_size32 1
		.amdhsa_uses_dynamic_stack 0
		.amdhsa_enable_private_segment 1
		.amdhsa_system_sgpr_workgroup_id_x 1
		.amdhsa_system_sgpr_workgroup_id_y 0
		.amdhsa_system_sgpr_workgroup_id_z 0
		.amdhsa_system_sgpr_workgroup_info 0
		.amdhsa_system_vgpr_workitem_id 0
		.amdhsa_next_free_vgpr 256
		.amdhsa_next_free_sgpr 20
		.amdhsa_reserve_vcc 1
		.amdhsa_float_round_mode_32 0
		.amdhsa_float_round_mode_16_64 0
		.amdhsa_float_denorm_mode_32 3
		.amdhsa_float_denorm_mode_16_64 3
		.amdhsa_fp16_overflow 0
		.amdhsa_workgroup_processor_mode 1
		.amdhsa_memory_ordered 1
		.amdhsa_forward_progress 0
		.amdhsa_round_robin_scheduling 0
		.amdhsa_exception_fp_ieee_invalid_op 0
		.amdhsa_exception_fp_denorm_src 0
		.amdhsa_exception_fp_ieee_div_zero 0
		.amdhsa_exception_fp_ieee_overflow 0
		.amdhsa_exception_fp_ieee_underflow 0
		.amdhsa_exception_fp_ieee_inexact 0
		.amdhsa_exception_int_div_zero 0
	.end_amdhsa_kernel
	.text
.Lfunc_end0:
	.size	bluestein_single_back_len850_dim1_sp_op_CI_CI, .Lfunc_end0-bluestein_single_back_len850_dim1_sp_op_CI_CI
                                        ; -- End function
	.section	.AMDGPU.csdata,"",@progbits
; Kernel info:
; codeLenInByte = 19516
; NumSgprs: 22
; NumVgprs: 256
; ScratchSize: 80
; MemoryBound: 0
; FloatMode: 240
; IeeeMode: 1
; LDSByteSize: 6800 bytes/workgroup (compile time only)
; SGPRBlocks: 2
; VGPRBlocks: 31
; NumSGPRsForWavesPerEU: 22
; NumVGPRsForWavesPerEU: 256
; Occupancy: 5
; WaveLimiterHint : 1
; COMPUTE_PGM_RSRC2:SCRATCH_EN: 1
; COMPUTE_PGM_RSRC2:USER_SGPR: 2
; COMPUTE_PGM_RSRC2:TRAP_HANDLER: 0
; COMPUTE_PGM_RSRC2:TGID_X_EN: 1
; COMPUTE_PGM_RSRC2:TGID_Y_EN: 0
; COMPUTE_PGM_RSRC2:TGID_Z_EN: 0
; COMPUTE_PGM_RSRC2:TIDIG_COMP_CNT: 0
	.text
	.p2alignl 7, 3214868480
	.fill 96, 4, 3214868480
	.type	__hip_cuid_c91fdb540cdf466a,@object ; @__hip_cuid_c91fdb540cdf466a
	.section	.bss,"aw",@nobits
	.globl	__hip_cuid_c91fdb540cdf466a
__hip_cuid_c91fdb540cdf466a:
	.byte	0                               ; 0x0
	.size	__hip_cuid_c91fdb540cdf466a, 1

	.ident	"AMD clang version 19.0.0git (https://github.com/RadeonOpenCompute/llvm-project roc-6.4.0 25133 c7fe45cf4b819c5991fe208aaa96edf142730f1d)"
	.section	".note.GNU-stack","",@progbits
	.addrsig
	.addrsig_sym __hip_cuid_c91fdb540cdf466a
	.amdgpu_metadata
---
amdhsa.kernels:
  - .args:
      - .actual_access:  read_only
        .address_space:  global
        .offset:         0
        .size:           8
        .value_kind:     global_buffer
      - .actual_access:  read_only
        .address_space:  global
        .offset:         8
        .size:           8
        .value_kind:     global_buffer
      - .actual_access:  read_only
        .address_space:  global
        .offset:         16
        .size:           8
        .value_kind:     global_buffer
      - .actual_access:  read_only
        .address_space:  global
        .offset:         24
        .size:           8
        .value_kind:     global_buffer
      - .actual_access:  read_only
        .address_space:  global
        .offset:         32
        .size:           8
        .value_kind:     global_buffer
      - .offset:         40
        .size:           8
        .value_kind:     by_value
      - .address_space:  global
        .offset:         48
        .size:           8
        .value_kind:     global_buffer
      - .address_space:  global
        .offset:         56
        .size:           8
        .value_kind:     global_buffer
      - .address_space:  global
        .offset:         64
        .size:           8
        .value_kind:     global_buffer
      - .address_space:  global
        .offset:         72
        .size:           8
        .value_kind:     global_buffer
      - .offset:         80
        .size:           4
        .value_kind:     by_value
      - .address_space:  global
        .offset:         88
        .size:           8
        .value_kind:     global_buffer
      - .address_space:  global
        .offset:         96
        .size:           8
        .value_kind:     global_buffer
    .group_segment_fixed_size: 6800
    .kernarg_segment_align: 8
    .kernarg_segment_size: 104
    .language:       OpenCL C
    .language_version:
      - 2
      - 0
    .max_flat_workgroup_size: 85
    .name:           bluestein_single_back_len850_dim1_sp_op_CI_CI
    .private_segment_fixed_size: 80
    .sgpr_count:     22
    .sgpr_spill_count: 0
    .symbol:         bluestein_single_back_len850_dim1_sp_op_CI_CI.kd
    .uniform_work_group_size: 1
    .uses_dynamic_stack: false
    .vgpr_count:     256
    .vgpr_spill_count: 19
    .wavefront_size: 32
    .workgroup_processor_mode: 1
amdhsa.target:   amdgcn-amd-amdhsa--gfx1201
amdhsa.version:
  - 1
  - 2
...

	.end_amdgpu_metadata
